;; amdgpu-corpus repo=ROCm/rocm-examples kind=compiled arch=gfx906 opt=O3
	.amdgcn_target "amdgcn-amd-amdhsa--gfx906"
	.amdhsa_code_object_version 6
	.text
	.protected	_Z8kernel_aiPViiPi      ; -- Begin function _Z8kernel_aiPViiPi
	.globl	_Z8kernel_aiPViiPi
	.p2align	8
	.type	_Z8kernel_aiPViiPi,@function
_Z8kernel_aiPViiPi:                     ; @_Z8kernel_aiPViiPi
; %bb.0:
	s_load_dwordx2 s[8:9], s[4:5], 0x8
	s_load_dwordx2 s[6:7], s[4:5], 0x18
	s_waitcnt lgkmcnt(0)
	v_mov_b32_e32 v0, s8
	v_mov_b32_e32 v1, s9
	flat_load_dword v2, v[0:1] glc
	s_waitcnt vmcnt(0)
	s_load_dword s24, s[6:7], 0x0
	s_load_dwordx2 s[2:3], s[4:5], 0x70
	v_mbcnt_lo_u32_b32 v0, -1, 0
	v_mbcnt_hi_u32_b32 v33, -1, v0
	v_readfirstlane_b32 s0, v33
	v_mov_b32_e32 v0, 0
	v_mov_b32_e32 v1, 0
	v_cmp_eq_u32_e64 s[0:1], s0, v33
	s_and_saveexec_b64 s[10:11], s[0:1]
	s_cbranch_execz .LBB0_6
; %bb.1:
	v_mov_b32_e32 v3, 0
	s_waitcnt lgkmcnt(0)
	global_load_dwordx2 v[6:7], v3, s[2:3] offset:24 glc
	s_waitcnt vmcnt(0)
	buffer_wbinvl1_vol
	global_load_dwordx2 v[0:1], v3, s[2:3] offset:40
	global_load_dwordx2 v[4:5], v3, s[2:3]
	s_waitcnt vmcnt(1)
	v_and_b32_e32 v0, v0, v6
	v_and_b32_e32 v1, v1, v7
	v_mul_lo_u32 v1, v1, 24
	v_mul_hi_u32 v8, v0, 24
	v_mul_lo_u32 v0, v0, 24
	v_add_u32_e32 v1, v8, v1
	s_waitcnt vmcnt(0)
	v_add_co_u32_e32 v0, vcc, v4, v0
	v_addc_co_u32_e32 v1, vcc, v5, v1, vcc
	global_load_dwordx2 v[4:5], v[0:1], off glc
	s_waitcnt vmcnt(0)
	global_atomic_cmpswap_x2 v[0:1], v3, v[4:7], s[2:3] offset:24 glc
	s_waitcnt vmcnt(0)
	buffer_wbinvl1_vol
	v_cmp_ne_u64_e32 vcc, v[0:1], v[6:7]
	s_and_saveexec_b64 s[12:13], vcc
	s_cbranch_execz .LBB0_5
; %bb.2:
	s_mov_b64 s[14:15], 0
.LBB0_3:                                ; =>This Inner Loop Header: Depth=1
	s_sleep 1
	global_load_dwordx2 v[4:5], v3, s[2:3] offset:40
	global_load_dwordx2 v[8:9], v3, s[2:3]
	v_mov_b32_e32 v7, v1
	v_mov_b32_e32 v6, v0
	s_waitcnt vmcnt(1)
	v_and_b32_e32 v0, v4, v6
	s_waitcnt vmcnt(0)
	v_mad_u64_u32 v[0:1], s[16:17], v0, 24, v[8:9]
	v_and_b32_e32 v4, v5, v7
	v_mad_u64_u32 v[4:5], s[16:17], v4, 24, v[1:2]
	v_mov_b32_e32 v1, v4
	global_load_dwordx2 v[4:5], v[0:1], off glc
	s_waitcnt vmcnt(0)
	global_atomic_cmpswap_x2 v[0:1], v3, v[4:7], s[2:3] offset:24 glc
	s_waitcnt vmcnt(0)
	buffer_wbinvl1_vol
	v_cmp_eq_u64_e32 vcc, v[0:1], v[6:7]
	s_or_b64 s[14:15], vcc, s[14:15]
	s_andn2_b64 exec, exec, s[14:15]
	s_cbranch_execnz .LBB0_3
; %bb.4:
	s_or_b64 exec, exec, s[14:15]
.LBB0_5:
	s_or_b64 exec, exec, s[12:13]
.LBB0_6:
	s_or_b64 exec, exec, s[10:11]
	v_mov_b32_e32 v7, 0
	s_waitcnt lgkmcnt(0)
	global_load_dwordx2 v[8:9], v7, s[2:3] offset:40
	global_load_dwordx4 v[3:6], v7, s[2:3]
	v_readfirstlane_b32 s11, v1
	v_readfirstlane_b32 s10, v0
	s_mov_b64 s[12:13], exec
	s_waitcnt vmcnt(1)
	v_readfirstlane_b32 s14, v8
	v_readfirstlane_b32 s15, v9
	s_and_b64 s[14:15], s[14:15], s[10:11]
	s_mul_i32 s16, s15, 24
	s_mul_hi_u32 s17, s14, 24
	s_mul_i32 s18, s14, 24
	s_add_i32 s16, s17, s16
	v_mov_b32_e32 v1, s16
	s_waitcnt vmcnt(0)
	v_add_co_u32_e32 v0, vcc, s18, v3
	v_addc_co_u32_e32 v1, vcc, v4, v1, vcc
	s_and_saveexec_b64 s[16:17], s[0:1]
	s_cbranch_execz .LBB0_8
; %bb.7:
	v_mov_b32_e32 v8, s12
	v_mov_b32_e32 v9, s13
	;; [unrolled: 1-line block ×4, first 2 shown]
	global_store_dwordx4 v[0:1], v[8:11], off offset:8
.LBB0_8:
	s_or_b64 exec, exec, s[16:17]
	s_lshl_b64 s[12:13], s[14:15], 12
	v_mov_b32_e32 v8, s13
	v_add_co_u32_e32 v5, vcc, s12, v5
	v_addc_co_u32_e32 v12, vcc, v6, v8, vcc
	v_lshlrev_b32_e32 v32, 6, v33
	s_mov_b32 s12, 0
	v_mov_b32_e32 v6, 33
	v_mov_b32_e32 v8, v7
	;; [unrolled: 1-line block ×3, first 2 shown]
	v_readfirstlane_b32 s16, v5
	v_readfirstlane_b32 s17, v12
	v_add_co_u32_e32 v10, vcc, v5, v32
	s_mov_b32 s13, s12
	s_mov_b32 s14, s12
	;; [unrolled: 1-line block ×3, first 2 shown]
	s_nop 0
	global_store_dwordx4 v32, v[6:9], s[16:17]
	v_mov_b32_e32 v5, s12
	v_addc_co_u32_e32 v11, vcc, 0, v12, vcc
	v_mov_b32_e32 v6, s13
	v_mov_b32_e32 v7, s14
	v_mov_b32_e32 v8, s15
	global_store_dwordx4 v32, v[5:8], s[16:17] offset:16
	global_store_dwordx4 v32, v[5:8], s[16:17] offset:32
	;; [unrolled: 1-line block ×3, first 2 shown]
	s_and_saveexec_b64 s[12:13], s[0:1]
	s_cbranch_execz .LBB0_16
; %bb.9:
	v_mov_b32_e32 v9, 0
	global_load_dwordx2 v[14:15], v9, s[2:3] offset:32 glc
	global_load_dwordx2 v[5:6], v9, s[2:3] offset:40
	v_mov_b32_e32 v12, s10
	v_mov_b32_e32 v13, s11
	s_waitcnt vmcnt(0)
	v_and_b32_e32 v5, s10, v5
	v_and_b32_e32 v6, s11, v6
	v_mul_lo_u32 v6, v6, 24
	v_mul_hi_u32 v7, v5, 24
	v_mul_lo_u32 v5, v5, 24
	v_add_u32_e32 v6, v7, v6
	v_add_co_u32_e32 v7, vcc, v3, v5
	v_addc_co_u32_e32 v8, vcc, v4, v6, vcc
	global_store_dwordx2 v[7:8], v[14:15], off
	s_waitcnt vmcnt(0)
	global_atomic_cmpswap_x2 v[5:6], v9, v[12:15], s[2:3] offset:32 glc
	s_waitcnt vmcnt(0)
	v_cmp_ne_u64_e32 vcc, v[5:6], v[14:15]
	s_and_saveexec_b64 s[14:15], vcc
	s_cbranch_execz .LBB0_12
; %bb.10:
	s_mov_b64 s[16:17], 0
.LBB0_11:                               ; =>This Inner Loop Header: Depth=1
	s_sleep 1
	global_store_dwordx2 v[7:8], v[5:6], off
	v_mov_b32_e32 v3, s10
	v_mov_b32_e32 v4, s11
	s_waitcnt vmcnt(0)
	global_atomic_cmpswap_x2 v[3:4], v9, v[3:6], s[2:3] offset:32 glc
	s_waitcnt vmcnt(0)
	v_cmp_eq_u64_e32 vcc, v[3:4], v[5:6]
	v_mov_b32_e32 v6, v4
	s_or_b64 s[16:17], vcc, s[16:17]
	v_mov_b32_e32 v5, v3
	s_andn2_b64 exec, exec, s[16:17]
	s_cbranch_execnz .LBB0_11
.LBB0_12:
	s_or_b64 exec, exec, s[14:15]
	v_mov_b32_e32 v6, 0
	global_load_dwordx2 v[3:4], v6, s[2:3] offset:16
	s_mov_b64 s[14:15], exec
	v_mbcnt_lo_u32_b32 v5, s14, 0
	v_mbcnt_hi_u32_b32 v5, s15, v5
	v_cmp_eq_u32_e32 vcc, 0, v5
	s_and_saveexec_b64 s[16:17], vcc
	s_cbranch_execz .LBB0_14
; %bb.13:
	s_bcnt1_i32_b64 s14, s[14:15]
	v_mov_b32_e32 v5, s14
	s_waitcnt vmcnt(0)
	global_atomic_add_x2 v[3:4], v[5:6], off offset:8
.LBB0_14:
	s_or_b64 exec, exec, s[16:17]
	s_waitcnt vmcnt(0)
	global_load_dwordx2 v[5:6], v[3:4], off offset:16
	s_waitcnt vmcnt(0)
	v_cmp_eq_u64_e32 vcc, 0, v[5:6]
	s_cbranch_vccnz .LBB0_16
; %bb.15:
	global_load_dword v3, v[3:4], off offset:24
	v_mov_b32_e32 v4, 0
	s_waitcnt vmcnt(0)
	v_readfirstlane_b32 s14, v3
	s_and_b32 m0, s14, 0xffffff
	global_store_dwordx2 v[5:6], v[3:4], off
	s_sendmsg sendmsg(MSG_INTERRUPT)
.LBB0_16:
	s_or_b64 exec, exec, s[12:13]
	s_branch .LBB0_20
.LBB0_17:                               ;   in Loop: Header=BB0_20 Depth=1
	s_or_b64 exec, exec, s[12:13]
	v_readfirstlane_b32 s12, v3
	s_cmp_eq_u32 s12, 0
	s_cbranch_scc1 .LBB0_19
; %bb.18:                               ;   in Loop: Header=BB0_20 Depth=1
	s_sleep 1
	s_cbranch_execnz .LBB0_20
	s_branch .LBB0_22
.LBB0_19:
	s_branch .LBB0_22
.LBB0_20:                               ; =>This Inner Loop Header: Depth=1
	v_mov_b32_e32 v3, 1
	s_and_saveexec_b64 s[12:13], s[0:1]
	s_cbranch_execz .LBB0_17
; %bb.21:                               ;   in Loop: Header=BB0_20 Depth=1
	global_load_dword v3, v[0:1], off offset:20 glc
	s_waitcnt vmcnt(0)
	buffer_wbinvl1_vol
	v_and_b32_e32 v3, 1, v3
	s_branch .LBB0_17
.LBB0_22:
	global_load_dwordx2 v[3:4], v[10:11], off
	s_and_saveexec_b64 s[12:13], s[0:1]
	s_cbranch_execz .LBB0_25
; %bb.23:
	v_mov_b32_e32 v9, 0
	global_load_dwordx2 v[0:1], v9, s[2:3] offset:40
	global_load_dwordx2 v[12:13], v9, s[2:3] offset:24 glc
	global_load_dwordx2 v[5:6], v9, s[2:3]
	s_waitcnt vmcnt(2)
	v_readfirstlane_b32 s14, v0
	v_readfirstlane_b32 s15, v1
	s_add_u32 s16, s14, 1
	s_addc_u32 s17, s15, 0
	s_add_u32 s0, s16, s10
	s_addc_u32 s1, s17, s11
	s_cmp_eq_u64 s[0:1], 0
	s_cselect_b32 s1, s17, s1
	s_cselect_b32 s0, s16, s0
	s_and_b64 s[10:11], s[0:1], s[14:15]
	s_mul_i32 s11, s11, 24
	s_mul_hi_u32 s14, s10, 24
	s_mul_i32 s10, s10, 24
	s_add_i32 s11, s14, s11
	v_mov_b32_e32 v1, s11
	s_waitcnt vmcnt(0)
	v_add_co_u32_e32 v0, vcc, s10, v5
	v_addc_co_u32_e32 v1, vcc, v6, v1, vcc
	v_mov_b32_e32 v10, s0
	global_store_dwordx2 v[0:1], v[12:13], off
	v_mov_b32_e32 v11, s1
	s_waitcnt vmcnt(0)
	global_atomic_cmpswap_x2 v[7:8], v9, v[10:13], s[2:3] offset:24 glc
	s_mov_b64 s[10:11], 0
	s_waitcnt vmcnt(0)
	v_cmp_ne_u64_e32 vcc, v[7:8], v[12:13]
	s_and_b64 exec, exec, vcc
	s_cbranch_execz .LBB0_25
.LBB0_24:                               ; =>This Inner Loop Header: Depth=1
	s_sleep 1
	global_store_dwordx2 v[0:1], v[7:8], off
	v_mov_b32_e32 v5, s0
	v_mov_b32_e32 v6, s1
	s_waitcnt vmcnt(0)
	global_atomic_cmpswap_x2 v[5:6], v9, v[5:8], s[2:3] offset:24 glc
	s_waitcnt vmcnt(0)
	v_cmp_eq_u64_e32 vcc, v[5:6], v[7:8]
	v_mov_b32_e32 v8, v6
	s_or_b64 s[10:11], vcc, s[10:11]
	v_mov_b32_e32 v7, v5
	s_andn2_b64 exec, exec, s[10:11]
	s_cbranch_execnz .LBB0_24
.LBB0_25:
	s_or_b64 exec, exec, s[12:13]
	s_getpc_b64 s[10:11]
	s_add_u32 s10, s10, .str@rel32@lo+4
	s_addc_u32 s11, s11, .str@rel32@hi+12
	s_cmp_lg_u64 s[10:11], 0
	s_cbranch_scc0 .LBB0_111
; %bb.26:
	s_waitcnt vmcnt(0)
	v_and_b32_e32 v31, 2, v3
	v_mov_b32_e32 v1, 0
	v_and_b32_e32 v5, -3, v3
	v_mov_b32_e32 v6, v4
	s_mov_b64 s[12:13], 41
	v_mov_b32_e32 v11, 2
	v_mov_b32_e32 v12, 1
	s_branch .LBB0_28
.LBB0_27:                               ;   in Loop: Header=BB0_28 Depth=1
	s_or_b64 exec, exec, s[18:19]
	s_sub_u32 s12, s12, s14
	s_subb_u32 s13, s13, s15
	s_add_u32 s10, s10, s14
	s_addc_u32 s11, s11, s15
	s_cmp_lg_u64 s[12:13], 0
	s_cbranch_scc0 .LBB0_110
.LBB0_28:                               ; =>This Loop Header: Depth=1
                                        ;     Child Loop BB0_31 Depth 2
                                        ;     Child Loop BB0_39 Depth 2
                                        ;     Child Loop BB0_47 Depth 2
                                        ;     Child Loop BB0_55 Depth 2
                                        ;     Child Loop BB0_63 Depth 2
                                        ;     Child Loop BB0_71 Depth 2
                                        ;     Child Loop BB0_79 Depth 2
                                        ;     Child Loop BB0_87 Depth 2
                                        ;     Child Loop BB0_95 Depth 2
                                        ;     Child Loop BB0_104 Depth 2
                                        ;     Child Loop BB0_109 Depth 2
	v_cmp_lt_u64_e64 s[0:1], s[12:13], 56
	v_cmp_gt_u64_e64 s[16:17], s[12:13], 7
	s_and_b64 s[0:1], s[0:1], exec
	s_cselect_b32 s15, s13, 0
	s_cselect_b32 s14, s12, 56
	s_add_u32 s0, s10, 8
	s_addc_u32 s1, s11, 0
	s_and_b64 vcc, exec, s[16:17]
	s_cbranch_vccnz .LBB0_32
; %bb.29:                               ;   in Loop: Header=BB0_28 Depth=1
	s_cmp_eq_u64 s[12:13], 0
	s_cbranch_scc1 .LBB0_33
; %bb.30:                               ;   in Loop: Header=BB0_28 Depth=1
	v_mov_b32_e32 v7, 0
	s_lshl_b64 s[0:1], s[14:15], 3
	s_mov_b64 s[16:17], 0
	v_mov_b32_e32 v8, 0
	s_mov_b64 s[18:19], s[10:11]
.LBB0_31:                               ;   Parent Loop BB0_28 Depth=1
                                        ; =>  This Inner Loop Header: Depth=2
	global_load_ubyte v0, v1, s[18:19]
	s_waitcnt vmcnt(0)
	v_and_b32_e32 v0, 0xffff, v0
	v_lshlrev_b64 v[9:10], s16, v[0:1]
	s_add_u32 s16, s16, 8
	s_addc_u32 s17, s17, 0
	s_add_u32 s18, s18, 1
	s_addc_u32 s19, s19, 0
	v_or_b32_e32 v7, v9, v7
	s_cmp_lg_u32 s0, s16
	v_or_b32_e32 v8, v10, v8
	s_cbranch_scc1 .LBB0_31
	s_branch .LBB0_34
.LBB0_32:                               ;   in Loop: Header=BB0_28 Depth=1
	s_mov_b32 s20, 0
	s_branch .LBB0_35
.LBB0_33:                               ;   in Loop: Header=BB0_28 Depth=1
	v_mov_b32_e32 v7, 0
	v_mov_b32_e32 v8, 0
.LBB0_34:                               ;   in Loop: Header=BB0_28 Depth=1
	s_mov_b64 s[0:1], s[10:11]
	s_mov_b32 s20, 0
	s_cbranch_execnz .LBB0_36
.LBB0_35:                               ;   in Loop: Header=BB0_28 Depth=1
	global_load_dwordx2 v[7:8], v1, s[10:11]
	s_add_i32 s20, s14, -8
.LBB0_36:                               ;   in Loop: Header=BB0_28 Depth=1
	s_add_u32 s16, s0, 8
	s_addc_u32 s17, s1, 0
	s_cmp_gt_u32 s20, 7
	s_cbranch_scc1 .LBB0_40
; %bb.37:                               ;   in Loop: Header=BB0_28 Depth=1
	s_cmp_eq_u32 s20, 0
	s_cbranch_scc1 .LBB0_41
; %bb.38:                               ;   in Loop: Header=BB0_28 Depth=1
	v_mov_b32_e32 v13, 0
	s_mov_b64 s[16:17], 0
	v_mov_b32_e32 v14, 0
	s_mov_b64 s[18:19], 0
.LBB0_39:                               ;   Parent Loop BB0_28 Depth=1
                                        ; =>  This Inner Loop Header: Depth=2
	s_add_u32 s22, s0, s18
	s_addc_u32 s23, s1, s19
	global_load_ubyte v0, v1, s[22:23]
	s_add_u32 s18, s18, 1
	s_addc_u32 s19, s19, 0
	s_waitcnt vmcnt(0)
	v_and_b32_e32 v0, 0xffff, v0
	v_lshlrev_b64 v[9:10], s16, v[0:1]
	s_add_u32 s16, s16, 8
	s_addc_u32 s17, s17, 0
	v_or_b32_e32 v13, v9, v13
	s_cmp_lg_u32 s20, s18
	v_or_b32_e32 v14, v10, v14
	s_cbranch_scc1 .LBB0_39
	s_branch .LBB0_42
.LBB0_40:                               ;   in Loop: Header=BB0_28 Depth=1
                                        ; implicit-def: $vgpr13_vgpr14
	s_mov_b32 s21, 0
	s_branch .LBB0_43
.LBB0_41:                               ;   in Loop: Header=BB0_28 Depth=1
	v_mov_b32_e32 v13, 0
	v_mov_b32_e32 v14, 0
.LBB0_42:                               ;   in Loop: Header=BB0_28 Depth=1
	s_mov_b64 s[16:17], s[0:1]
	s_mov_b32 s21, 0
	s_cbranch_execnz .LBB0_44
.LBB0_43:                               ;   in Loop: Header=BB0_28 Depth=1
	global_load_dwordx2 v[13:14], v1, s[0:1]
	s_add_i32 s21, s20, -8
.LBB0_44:                               ;   in Loop: Header=BB0_28 Depth=1
	s_add_u32 s0, s16, 8
	s_addc_u32 s1, s17, 0
	s_cmp_gt_u32 s21, 7
	s_cbranch_scc1 .LBB0_48
; %bb.45:                               ;   in Loop: Header=BB0_28 Depth=1
	s_cmp_eq_u32 s21, 0
	s_cbranch_scc1 .LBB0_49
; %bb.46:                               ;   in Loop: Header=BB0_28 Depth=1
	v_mov_b32_e32 v15, 0
	s_mov_b64 s[0:1], 0
	v_mov_b32_e32 v16, 0
	s_mov_b64 s[18:19], 0
.LBB0_47:                               ;   Parent Loop BB0_28 Depth=1
                                        ; =>  This Inner Loop Header: Depth=2
	s_add_u32 s22, s16, s18
	s_addc_u32 s23, s17, s19
	global_load_ubyte v0, v1, s[22:23]
	s_add_u32 s18, s18, 1
	s_addc_u32 s19, s19, 0
	s_waitcnt vmcnt(0)
	v_and_b32_e32 v0, 0xffff, v0
	v_lshlrev_b64 v[9:10], s0, v[0:1]
	s_add_u32 s0, s0, 8
	s_addc_u32 s1, s1, 0
	v_or_b32_e32 v15, v9, v15
	s_cmp_lg_u32 s21, s18
	v_or_b32_e32 v16, v10, v16
	s_cbranch_scc1 .LBB0_47
	s_branch .LBB0_50
.LBB0_48:                               ;   in Loop: Header=BB0_28 Depth=1
	s_mov_b32 s20, 0
	s_branch .LBB0_51
.LBB0_49:                               ;   in Loop: Header=BB0_28 Depth=1
	v_mov_b32_e32 v15, 0
	v_mov_b32_e32 v16, 0
.LBB0_50:                               ;   in Loop: Header=BB0_28 Depth=1
	s_mov_b64 s[0:1], s[16:17]
	s_mov_b32 s20, 0
	s_cbranch_execnz .LBB0_52
.LBB0_51:                               ;   in Loop: Header=BB0_28 Depth=1
	global_load_dwordx2 v[15:16], v1, s[16:17]
	s_add_i32 s20, s21, -8
.LBB0_52:                               ;   in Loop: Header=BB0_28 Depth=1
	s_add_u32 s16, s0, 8
	s_addc_u32 s17, s1, 0
	s_cmp_gt_u32 s20, 7
	s_cbranch_scc1 .LBB0_56
; %bb.53:                               ;   in Loop: Header=BB0_28 Depth=1
	s_cmp_eq_u32 s20, 0
	s_cbranch_scc1 .LBB0_57
; %bb.54:                               ;   in Loop: Header=BB0_28 Depth=1
	v_mov_b32_e32 v17, 0
	s_mov_b64 s[16:17], 0
	v_mov_b32_e32 v18, 0
	s_mov_b64 s[18:19], 0
.LBB0_55:                               ;   Parent Loop BB0_28 Depth=1
                                        ; =>  This Inner Loop Header: Depth=2
	s_add_u32 s22, s0, s18
	s_addc_u32 s23, s1, s19
	global_load_ubyte v0, v1, s[22:23]
	s_add_u32 s18, s18, 1
	s_addc_u32 s19, s19, 0
	s_waitcnt vmcnt(0)
	v_and_b32_e32 v0, 0xffff, v0
	v_lshlrev_b64 v[9:10], s16, v[0:1]
	s_add_u32 s16, s16, 8
	s_addc_u32 s17, s17, 0
	v_or_b32_e32 v17, v9, v17
	s_cmp_lg_u32 s20, s18
	v_or_b32_e32 v18, v10, v18
	s_cbranch_scc1 .LBB0_55
	s_branch .LBB0_58
.LBB0_56:                               ;   in Loop: Header=BB0_28 Depth=1
                                        ; implicit-def: $vgpr17_vgpr18
	s_mov_b32 s21, 0
	s_branch .LBB0_59
.LBB0_57:                               ;   in Loop: Header=BB0_28 Depth=1
	v_mov_b32_e32 v17, 0
	v_mov_b32_e32 v18, 0
.LBB0_58:                               ;   in Loop: Header=BB0_28 Depth=1
	s_mov_b64 s[16:17], s[0:1]
	s_mov_b32 s21, 0
	s_cbranch_execnz .LBB0_60
.LBB0_59:                               ;   in Loop: Header=BB0_28 Depth=1
	global_load_dwordx2 v[17:18], v1, s[0:1]
	s_add_i32 s21, s20, -8
.LBB0_60:                               ;   in Loop: Header=BB0_28 Depth=1
	s_add_u32 s0, s16, 8
	s_addc_u32 s1, s17, 0
	s_cmp_gt_u32 s21, 7
	s_cbranch_scc1 .LBB0_64
; %bb.61:                               ;   in Loop: Header=BB0_28 Depth=1
	s_cmp_eq_u32 s21, 0
	s_cbranch_scc1 .LBB0_65
; %bb.62:                               ;   in Loop: Header=BB0_28 Depth=1
	v_mov_b32_e32 v19, 0
	s_mov_b64 s[0:1], 0
	v_mov_b32_e32 v20, 0
	s_mov_b64 s[18:19], 0
.LBB0_63:                               ;   Parent Loop BB0_28 Depth=1
                                        ; =>  This Inner Loop Header: Depth=2
	s_add_u32 s22, s16, s18
	s_addc_u32 s23, s17, s19
	global_load_ubyte v0, v1, s[22:23]
	s_add_u32 s18, s18, 1
	s_addc_u32 s19, s19, 0
	s_waitcnt vmcnt(0)
	v_and_b32_e32 v0, 0xffff, v0
	v_lshlrev_b64 v[9:10], s0, v[0:1]
	s_add_u32 s0, s0, 8
	s_addc_u32 s1, s1, 0
	v_or_b32_e32 v19, v9, v19
	s_cmp_lg_u32 s21, s18
	v_or_b32_e32 v20, v10, v20
	s_cbranch_scc1 .LBB0_63
	s_branch .LBB0_66
.LBB0_64:                               ;   in Loop: Header=BB0_28 Depth=1
	s_mov_b32 s20, 0
	s_branch .LBB0_67
.LBB0_65:                               ;   in Loop: Header=BB0_28 Depth=1
	v_mov_b32_e32 v19, 0
	v_mov_b32_e32 v20, 0
.LBB0_66:                               ;   in Loop: Header=BB0_28 Depth=1
	s_mov_b64 s[0:1], s[16:17]
	s_mov_b32 s20, 0
	s_cbranch_execnz .LBB0_68
.LBB0_67:                               ;   in Loop: Header=BB0_28 Depth=1
	global_load_dwordx2 v[19:20], v1, s[16:17]
	s_add_i32 s20, s21, -8
.LBB0_68:                               ;   in Loop: Header=BB0_28 Depth=1
	s_add_u32 s16, s0, 8
	s_addc_u32 s17, s1, 0
	s_cmp_gt_u32 s20, 7
	s_cbranch_scc1 .LBB0_72
; %bb.69:                               ;   in Loop: Header=BB0_28 Depth=1
	s_cmp_eq_u32 s20, 0
	s_cbranch_scc1 .LBB0_73
; %bb.70:                               ;   in Loop: Header=BB0_28 Depth=1
	v_mov_b32_e32 v21, 0
	s_mov_b64 s[16:17], 0
	v_mov_b32_e32 v22, 0
	s_mov_b64 s[18:19], 0
.LBB0_71:                               ;   Parent Loop BB0_28 Depth=1
                                        ; =>  This Inner Loop Header: Depth=2
	s_add_u32 s22, s0, s18
	s_addc_u32 s23, s1, s19
	global_load_ubyte v0, v1, s[22:23]
	s_add_u32 s18, s18, 1
	s_addc_u32 s19, s19, 0
	s_waitcnt vmcnt(0)
	v_and_b32_e32 v0, 0xffff, v0
	v_lshlrev_b64 v[9:10], s16, v[0:1]
	s_add_u32 s16, s16, 8
	s_addc_u32 s17, s17, 0
	v_or_b32_e32 v21, v9, v21
	s_cmp_lg_u32 s20, s18
	v_or_b32_e32 v22, v10, v22
	s_cbranch_scc1 .LBB0_71
	s_branch .LBB0_74
.LBB0_72:                               ;   in Loop: Header=BB0_28 Depth=1
                                        ; implicit-def: $vgpr21_vgpr22
	s_mov_b32 s21, 0
	s_branch .LBB0_75
.LBB0_73:                               ;   in Loop: Header=BB0_28 Depth=1
	v_mov_b32_e32 v21, 0
	v_mov_b32_e32 v22, 0
.LBB0_74:                               ;   in Loop: Header=BB0_28 Depth=1
	s_mov_b64 s[16:17], s[0:1]
	s_mov_b32 s21, 0
	s_cbranch_execnz .LBB0_76
.LBB0_75:                               ;   in Loop: Header=BB0_28 Depth=1
	global_load_dwordx2 v[21:22], v1, s[0:1]
	s_add_i32 s21, s20, -8
.LBB0_76:                               ;   in Loop: Header=BB0_28 Depth=1
	s_cmp_gt_u32 s21, 7
	s_cbranch_scc1 .LBB0_80
; %bb.77:                               ;   in Loop: Header=BB0_28 Depth=1
	s_cmp_eq_u32 s21, 0
	s_cbranch_scc1 .LBB0_81
; %bb.78:                               ;   in Loop: Header=BB0_28 Depth=1
	v_mov_b32_e32 v23, 0
	s_mov_b64 s[0:1], 0
	v_mov_b32_e32 v24, 0
	s_mov_b64 s[18:19], s[16:17]
.LBB0_79:                               ;   Parent Loop BB0_28 Depth=1
                                        ; =>  This Inner Loop Header: Depth=2
	global_load_ubyte v0, v1, s[18:19]
	s_add_i32 s21, s21, -1
	s_waitcnt vmcnt(0)
	v_and_b32_e32 v0, 0xffff, v0
	v_lshlrev_b64 v[9:10], s0, v[0:1]
	s_add_u32 s0, s0, 8
	s_addc_u32 s1, s1, 0
	s_add_u32 s18, s18, 1
	s_addc_u32 s19, s19, 0
	v_or_b32_e32 v23, v9, v23
	s_cmp_lg_u32 s21, 0
	v_or_b32_e32 v24, v10, v24
	s_cbranch_scc1 .LBB0_79
	s_branch .LBB0_82
.LBB0_80:                               ;   in Loop: Header=BB0_28 Depth=1
	s_branch .LBB0_83
.LBB0_81:                               ;   in Loop: Header=BB0_28 Depth=1
	v_mov_b32_e32 v23, 0
	v_mov_b32_e32 v24, 0
.LBB0_82:                               ;   in Loop: Header=BB0_28 Depth=1
	s_cbranch_execnz .LBB0_84
.LBB0_83:                               ;   in Loop: Header=BB0_28 Depth=1
	global_load_dwordx2 v[23:24], v1, s[16:17]
.LBB0_84:                               ;   in Loop: Header=BB0_28 Depth=1
	v_readfirstlane_b32 s0, v33
	v_mov_b32_e32 v9, 0
	v_mov_b32_e32 v10, 0
	v_cmp_eq_u32_e64 s[0:1], s0, v33
	s_and_saveexec_b64 s[16:17], s[0:1]
	s_cbranch_execz .LBB0_90
; %bb.85:                               ;   in Loop: Header=BB0_28 Depth=1
	global_load_dwordx2 v[27:28], v1, s[2:3] offset:24 glc
	s_waitcnt vmcnt(0)
	buffer_wbinvl1_vol
	global_load_dwordx2 v[9:10], v1, s[2:3] offset:40
	global_load_dwordx2 v[25:26], v1, s[2:3]
	s_waitcnt vmcnt(1)
	v_and_b32_e32 v0, v9, v27
	v_and_b32_e32 v9, v10, v28
	v_mul_lo_u32 v9, v9, 24
	v_mul_hi_u32 v10, v0, 24
	v_mul_lo_u32 v0, v0, 24
	v_add_u32_e32 v10, v10, v9
	s_waitcnt vmcnt(0)
	v_add_co_u32_e32 v9, vcc, v25, v0
	v_addc_co_u32_e32 v10, vcc, v26, v10, vcc
	global_load_dwordx2 v[25:26], v[9:10], off glc
	s_waitcnt vmcnt(0)
	global_atomic_cmpswap_x2 v[9:10], v1, v[25:28], s[2:3] offset:24 glc
	s_waitcnt vmcnt(0)
	buffer_wbinvl1_vol
	v_cmp_ne_u64_e32 vcc, v[9:10], v[27:28]
	s_and_saveexec_b64 s[18:19], vcc
	s_cbranch_execz .LBB0_89
; %bb.86:                               ;   in Loop: Header=BB0_28 Depth=1
	s_mov_b64 s[20:21], 0
.LBB0_87:                               ;   Parent Loop BB0_28 Depth=1
                                        ; =>  This Inner Loop Header: Depth=2
	s_sleep 1
	global_load_dwordx2 v[25:26], v1, s[2:3] offset:40
	global_load_dwordx2 v[29:30], v1, s[2:3]
	v_mov_b32_e32 v28, v10
	v_mov_b32_e32 v27, v9
	s_waitcnt vmcnt(1)
	v_and_b32_e32 v0, v25, v27
	s_waitcnt vmcnt(0)
	v_mad_u64_u32 v[9:10], s[22:23], v0, 24, v[29:30]
	v_and_b32_e32 v25, v26, v28
	v_mov_b32_e32 v0, v10
	v_mad_u64_u32 v[25:26], s[22:23], v25, 24, v[0:1]
	v_mov_b32_e32 v10, v25
	global_load_dwordx2 v[25:26], v[9:10], off glc
	s_waitcnt vmcnt(0)
	global_atomic_cmpswap_x2 v[9:10], v1, v[25:28], s[2:3] offset:24 glc
	s_waitcnt vmcnt(0)
	buffer_wbinvl1_vol
	v_cmp_eq_u64_e32 vcc, v[9:10], v[27:28]
	s_or_b64 s[20:21], vcc, s[20:21]
	s_andn2_b64 exec, exec, s[20:21]
	s_cbranch_execnz .LBB0_87
; %bb.88:                               ;   in Loop: Header=BB0_28 Depth=1
	s_or_b64 exec, exec, s[20:21]
.LBB0_89:                               ;   in Loop: Header=BB0_28 Depth=1
	s_or_b64 exec, exec, s[18:19]
.LBB0_90:                               ;   in Loop: Header=BB0_28 Depth=1
	s_or_b64 exec, exec, s[16:17]
	global_load_dwordx2 v[29:30], v1, s[2:3] offset:40
	global_load_dwordx4 v[25:28], v1, s[2:3]
	v_readfirstlane_b32 s17, v10
	v_readfirstlane_b32 s16, v9
	s_mov_b64 s[18:19], exec
	s_waitcnt vmcnt(1)
	v_readfirstlane_b32 s20, v29
	v_readfirstlane_b32 s21, v30
	s_and_b64 s[20:21], s[20:21], s[16:17]
	s_mul_i32 s22, s21, 24
	s_mul_hi_u32 s23, s20, 24
	s_mul_i32 s25, s20, 24
	s_add_i32 s22, s23, s22
	v_mov_b32_e32 v0, s22
	s_waitcnt vmcnt(0)
	v_add_co_u32_e32 v29, vcc, s25, v25
	v_addc_co_u32_e32 v30, vcc, v26, v0, vcc
	s_and_saveexec_b64 s[22:23], s[0:1]
	s_cbranch_execz .LBB0_92
; %bb.91:                               ;   in Loop: Header=BB0_28 Depth=1
	v_mov_b32_e32 v9, s18
	v_mov_b32_e32 v10, s19
	global_store_dwordx4 v[29:30], v[9:12], off offset:8
.LBB0_92:                               ;   in Loop: Header=BB0_28 Depth=1
	s_or_b64 exec, exec, s[22:23]
	s_lshl_b64 s[18:19], s[20:21], 12
	v_mov_b32_e32 v0, s19
	v_add_co_u32_e32 v27, vcc, s18, v27
	v_addc_co_u32_e32 v28, vcc, v28, v0, vcc
	v_cmp_lt_u64_e64 vcc, s[12:13], 57
	s_lshl_b32 s18, s14, 2
	v_cndmask_b32_e32 v0, 0, v31, vcc
	s_add_i32 s18, s18, 28
	v_and_b32_e32 v5, 0xffffff1f, v5
	s_and_b32 s18, s18, 0x1e0
	v_or_b32_e32 v0, v5, v0
	v_or_b32_e32 v5, s18, v0
	v_readfirstlane_b32 s18, v27
	v_readfirstlane_b32 s19, v28
	s_nop 4
	global_store_dwordx4 v32, v[5:8], s[18:19]
	global_store_dwordx4 v32, v[13:16], s[18:19] offset:16
	global_store_dwordx4 v32, v[17:20], s[18:19] offset:32
	;; [unrolled: 1-line block ×3, first 2 shown]
	s_and_saveexec_b64 s[18:19], s[0:1]
	s_cbranch_execz .LBB0_100
; %bb.93:                               ;   in Loop: Header=BB0_28 Depth=1
	global_load_dwordx2 v[15:16], v1, s[2:3] offset:32 glc
	global_load_dwordx2 v[5:6], v1, s[2:3] offset:40
	v_mov_b32_e32 v13, s16
	v_mov_b32_e32 v14, s17
	s_waitcnt vmcnt(0)
	v_readfirstlane_b32 s20, v5
	v_readfirstlane_b32 s21, v6
	s_and_b64 s[20:21], s[20:21], s[16:17]
	s_mul_i32 s21, s21, 24
	s_mul_hi_u32 s22, s20, 24
	s_mul_i32 s20, s20, 24
	s_add_i32 s21, s22, s21
	v_mov_b32_e32 v0, s21
	v_add_co_u32_e32 v9, vcc, s20, v25
	v_addc_co_u32_e32 v10, vcc, v26, v0, vcc
	global_store_dwordx2 v[9:10], v[15:16], off
	s_waitcnt vmcnt(0)
	global_atomic_cmpswap_x2 v[7:8], v1, v[13:16], s[2:3] offset:32 glc
	s_waitcnt vmcnt(0)
	v_cmp_ne_u64_e32 vcc, v[7:8], v[15:16]
	s_and_saveexec_b64 s[20:21], vcc
	s_cbranch_execz .LBB0_96
; %bb.94:                               ;   in Loop: Header=BB0_28 Depth=1
	s_mov_b64 s[22:23], 0
.LBB0_95:                               ;   Parent Loop BB0_28 Depth=1
                                        ; =>  This Inner Loop Header: Depth=2
	s_sleep 1
	global_store_dwordx2 v[9:10], v[7:8], off
	v_mov_b32_e32 v5, s16
	v_mov_b32_e32 v6, s17
	s_waitcnt vmcnt(0)
	global_atomic_cmpswap_x2 v[5:6], v1, v[5:8], s[2:3] offset:32 glc
	s_waitcnt vmcnt(0)
	v_cmp_eq_u64_e32 vcc, v[5:6], v[7:8]
	v_mov_b32_e32 v8, v6
	s_or_b64 s[22:23], vcc, s[22:23]
	v_mov_b32_e32 v7, v5
	s_andn2_b64 exec, exec, s[22:23]
	s_cbranch_execnz .LBB0_95
.LBB0_96:                               ;   in Loop: Header=BB0_28 Depth=1
	s_or_b64 exec, exec, s[20:21]
	global_load_dwordx2 v[5:6], v1, s[2:3] offset:16
	s_mov_b64 s[22:23], exec
	v_mbcnt_lo_u32_b32 v0, s22, 0
	v_mbcnt_hi_u32_b32 v0, s23, v0
	v_cmp_eq_u32_e32 vcc, 0, v0
	s_and_saveexec_b64 s[20:21], vcc
	s_cbranch_execz .LBB0_98
; %bb.97:                               ;   in Loop: Header=BB0_28 Depth=1
	s_bcnt1_i32_b64 s22, s[22:23]
	v_mov_b32_e32 v0, s22
	s_waitcnt vmcnt(0)
	global_atomic_add_x2 v[5:6], v[0:1], off offset:8
.LBB0_98:                               ;   in Loop: Header=BB0_28 Depth=1
	s_or_b64 exec, exec, s[20:21]
	s_waitcnt vmcnt(0)
	global_load_dwordx2 v[7:8], v[5:6], off offset:16
	s_waitcnt vmcnt(0)
	v_cmp_eq_u64_e32 vcc, 0, v[7:8]
	s_cbranch_vccnz .LBB0_100
; %bb.99:                               ;   in Loop: Header=BB0_28 Depth=1
	global_load_dword v0, v[5:6], off offset:24
	s_waitcnt vmcnt(0)
	v_readfirstlane_b32 s20, v0
	s_and_b32 m0, s20, 0xffffff
	global_store_dwordx2 v[7:8], v[0:1], off
	s_sendmsg sendmsg(MSG_INTERRUPT)
.LBB0_100:                              ;   in Loop: Header=BB0_28 Depth=1
	s_or_b64 exec, exec, s[18:19]
	v_add_co_u32_e32 v5, vcc, v27, v32
	v_addc_co_u32_e32 v6, vcc, 0, v28, vcc
	s_branch .LBB0_104
.LBB0_101:                              ;   in Loop: Header=BB0_104 Depth=2
	s_or_b64 exec, exec, s[18:19]
	v_readfirstlane_b32 s18, v0
	s_cmp_eq_u32 s18, 0
	s_cbranch_scc1 .LBB0_103
; %bb.102:                              ;   in Loop: Header=BB0_104 Depth=2
	s_sleep 1
	s_cbranch_execnz .LBB0_104
	s_branch .LBB0_106
.LBB0_103:                              ;   in Loop: Header=BB0_28 Depth=1
	s_branch .LBB0_106
.LBB0_104:                              ;   Parent Loop BB0_28 Depth=1
                                        ; =>  This Inner Loop Header: Depth=2
	v_mov_b32_e32 v0, 1
	s_and_saveexec_b64 s[18:19], s[0:1]
	s_cbranch_execz .LBB0_101
; %bb.105:                              ;   in Loop: Header=BB0_104 Depth=2
	global_load_dword v0, v[29:30], off offset:20 glc
	s_waitcnt vmcnt(0)
	buffer_wbinvl1_vol
	v_and_b32_e32 v0, 1, v0
	s_branch .LBB0_101
.LBB0_106:                              ;   in Loop: Header=BB0_28 Depth=1
	global_load_dwordx2 v[5:6], v[5:6], off
	s_and_saveexec_b64 s[18:19], s[0:1]
	s_cbranch_execz .LBB0_27
; %bb.107:                              ;   in Loop: Header=BB0_28 Depth=1
	global_load_dwordx2 v[7:8], v1, s[2:3] offset:40
	global_load_dwordx2 v[17:18], v1, s[2:3] offset:24 glc
	global_load_dwordx2 v[9:10], v1, s[2:3]
	s_waitcnt vmcnt(2)
	v_readfirstlane_b32 s20, v7
	v_readfirstlane_b32 s21, v8
	s_add_u32 s22, s20, 1
	s_addc_u32 s23, s21, 0
	s_add_u32 s0, s22, s16
	s_addc_u32 s1, s23, s17
	s_cmp_eq_u64 s[0:1], 0
	s_cselect_b32 s1, s23, s1
	s_cselect_b32 s0, s22, s0
	s_and_b64 s[16:17], s[0:1], s[20:21]
	s_mul_i32 s17, s17, 24
	s_mul_hi_u32 s20, s16, 24
	s_mul_i32 s16, s16, 24
	s_add_i32 s17, s20, s17
	v_mov_b32_e32 v0, s17
	s_waitcnt vmcnt(0)
	v_add_co_u32_e32 v13, vcc, s16, v9
	v_addc_co_u32_e32 v14, vcc, v10, v0, vcc
	v_mov_b32_e32 v15, s0
	global_store_dwordx2 v[13:14], v[17:18], off
	v_mov_b32_e32 v16, s1
	s_waitcnt vmcnt(0)
	global_atomic_cmpswap_x2 v[9:10], v1, v[15:18], s[2:3] offset:24 glc
	s_waitcnt vmcnt(0)
	v_cmp_ne_u64_e32 vcc, v[9:10], v[17:18]
	s_and_b64 exec, exec, vcc
	s_cbranch_execz .LBB0_27
; %bb.108:                              ;   in Loop: Header=BB0_28 Depth=1
	s_mov_b64 s[16:17], 0
.LBB0_109:                              ;   Parent Loop BB0_28 Depth=1
                                        ; =>  This Inner Loop Header: Depth=2
	s_sleep 1
	global_store_dwordx2 v[13:14], v[9:10], off
	v_mov_b32_e32 v7, s0
	v_mov_b32_e32 v8, s1
	s_waitcnt vmcnt(0)
	global_atomic_cmpswap_x2 v[7:8], v1, v[7:10], s[2:3] offset:24 glc
	s_waitcnt vmcnt(0)
	v_cmp_eq_u64_e32 vcc, v[7:8], v[9:10]
	v_mov_b32_e32 v10, v8
	s_or_b64 s[16:17], vcc, s[16:17]
	v_mov_b32_e32 v9, v7
	s_andn2_b64 exec, exec, s[16:17]
	s_cbranch_execnz .LBB0_109
	s_branch .LBB0_27
.LBB0_110:
	s_branch .LBB0_138
.LBB0_111:
                                        ; implicit-def: $vgpr5_vgpr6
	s_cbranch_execz .LBB0_138
; %bb.112:
	v_readfirstlane_b32 s0, v33
	v_mov_b32_e32 v0, 0
	v_mov_b32_e32 v1, 0
	v_cmp_eq_u32_e64 s[0:1], s0, v33
	s_and_saveexec_b64 s[10:11], s[0:1]
	s_cbranch_execz .LBB0_118
; %bb.113:
	s_waitcnt vmcnt(0)
	v_mov_b32_e32 v5, 0
	global_load_dwordx2 v[8:9], v5, s[2:3] offset:24 glc
	s_waitcnt vmcnt(0)
	buffer_wbinvl1_vol
	global_load_dwordx2 v[0:1], v5, s[2:3] offset:40
	global_load_dwordx2 v[6:7], v5, s[2:3]
	s_waitcnt vmcnt(1)
	v_and_b32_e32 v0, v0, v8
	v_and_b32_e32 v1, v1, v9
	v_mul_lo_u32 v1, v1, 24
	v_mul_hi_u32 v10, v0, 24
	v_mul_lo_u32 v0, v0, 24
	v_add_u32_e32 v1, v10, v1
	s_waitcnt vmcnt(0)
	v_add_co_u32_e32 v0, vcc, v6, v0
	v_addc_co_u32_e32 v1, vcc, v7, v1, vcc
	global_load_dwordx2 v[6:7], v[0:1], off glc
	s_waitcnt vmcnt(0)
	global_atomic_cmpswap_x2 v[0:1], v5, v[6:9], s[2:3] offset:24 glc
	s_waitcnt vmcnt(0)
	buffer_wbinvl1_vol
	v_cmp_ne_u64_e32 vcc, v[0:1], v[8:9]
	s_and_saveexec_b64 s[12:13], vcc
	s_cbranch_execz .LBB0_117
; %bb.114:
	s_mov_b64 s[14:15], 0
.LBB0_115:                              ; =>This Inner Loop Header: Depth=1
	s_sleep 1
	global_load_dwordx2 v[6:7], v5, s[2:3] offset:40
	global_load_dwordx2 v[10:11], v5, s[2:3]
	v_mov_b32_e32 v9, v1
	v_mov_b32_e32 v8, v0
	s_waitcnt vmcnt(1)
	v_and_b32_e32 v0, v6, v8
	s_waitcnt vmcnt(0)
	v_mad_u64_u32 v[0:1], s[16:17], v0, 24, v[10:11]
	v_and_b32_e32 v6, v7, v9
	v_mad_u64_u32 v[6:7], s[16:17], v6, 24, v[1:2]
	v_mov_b32_e32 v1, v6
	global_load_dwordx2 v[6:7], v[0:1], off glc
	s_waitcnt vmcnt(0)
	global_atomic_cmpswap_x2 v[0:1], v5, v[6:9], s[2:3] offset:24 glc
	s_waitcnt vmcnt(0)
	buffer_wbinvl1_vol
	v_cmp_eq_u64_e32 vcc, v[0:1], v[8:9]
	s_or_b64 s[14:15], vcc, s[14:15]
	s_andn2_b64 exec, exec, s[14:15]
	s_cbranch_execnz .LBB0_115
; %bb.116:
	s_or_b64 exec, exec, s[14:15]
.LBB0_117:
	s_or_b64 exec, exec, s[12:13]
.LBB0_118:
	s_or_b64 exec, exec, s[10:11]
	s_waitcnt vmcnt(0)
	v_mov_b32_e32 v5, 0
	global_load_dwordx2 v[11:12], v5, s[2:3] offset:40
	global_load_dwordx4 v[7:10], v5, s[2:3]
	v_readfirstlane_b32 s11, v1
	v_readfirstlane_b32 s10, v0
	s_mov_b64 s[12:13], exec
	s_waitcnt vmcnt(1)
	v_readfirstlane_b32 s14, v11
	v_readfirstlane_b32 s15, v12
	s_and_b64 s[14:15], s[14:15], s[10:11]
	s_mul_i32 s16, s15, 24
	s_mul_hi_u32 s17, s14, 24
	s_mul_i32 s18, s14, 24
	s_add_i32 s16, s17, s16
	v_mov_b32_e32 v1, s16
	s_waitcnt vmcnt(0)
	v_add_co_u32_e32 v0, vcc, s18, v7
	v_addc_co_u32_e32 v1, vcc, v8, v1, vcc
	s_and_saveexec_b64 s[16:17], s[0:1]
	s_cbranch_execz .LBB0_120
; %bb.119:
	v_mov_b32_e32 v11, s12
	v_mov_b32_e32 v12, s13
	v_mov_b32_e32 v13, 2
	v_mov_b32_e32 v14, 1
	global_store_dwordx4 v[0:1], v[11:14], off offset:8
.LBB0_120:
	s_or_b64 exec, exec, s[16:17]
	s_lshl_b64 s[12:13], s[14:15], 12
	v_mov_b32_e32 v6, s13
	v_add_co_u32_e32 v11, vcc, s12, v9
	v_addc_co_u32_e32 v12, vcc, v10, v6, vcc
	s_movk_i32 s12, 0xff1f
	v_and_or_b32 v3, v3, s12, 32
	s_mov_b32 s12, 0
	v_mov_b32_e32 v6, v5
	v_readfirstlane_b32 s16, v11
	v_readfirstlane_b32 s17, v12
	v_add_co_u32_e32 v9, vcc, v11, v32
	s_mov_b32 s13, s12
	s_mov_b32 s14, s12
	;; [unrolled: 1-line block ×3, first 2 shown]
	s_nop 0
	global_store_dwordx4 v32, v[3:6], s[16:17]
	v_addc_co_u32_e32 v10, vcc, 0, v12, vcc
	v_mov_b32_e32 v3, s12
	v_mov_b32_e32 v4, s13
	;; [unrolled: 1-line block ×4, first 2 shown]
	global_store_dwordx4 v32, v[3:6], s[16:17] offset:16
	global_store_dwordx4 v32, v[3:6], s[16:17] offset:32
	global_store_dwordx4 v32, v[3:6], s[16:17] offset:48
	s_and_saveexec_b64 s[12:13], s[0:1]
	s_cbranch_execz .LBB0_128
; %bb.121:
	v_mov_b32_e32 v11, 0
	global_load_dwordx2 v[14:15], v11, s[2:3] offset:32 glc
	global_load_dwordx2 v[3:4], v11, s[2:3] offset:40
	v_mov_b32_e32 v12, s10
	v_mov_b32_e32 v13, s11
	s_waitcnt vmcnt(0)
	v_readfirstlane_b32 s14, v3
	v_readfirstlane_b32 s15, v4
	s_and_b64 s[14:15], s[14:15], s[10:11]
	s_mul_i32 s15, s15, 24
	s_mul_hi_u32 s16, s14, 24
	s_mul_i32 s14, s14, 24
	s_add_i32 s15, s16, s15
	v_mov_b32_e32 v3, s15
	v_add_co_u32_e32 v7, vcc, s14, v7
	v_addc_co_u32_e32 v8, vcc, v8, v3, vcc
	global_store_dwordx2 v[7:8], v[14:15], off
	s_waitcnt vmcnt(0)
	global_atomic_cmpswap_x2 v[5:6], v11, v[12:15], s[2:3] offset:32 glc
	s_waitcnt vmcnt(0)
	v_cmp_ne_u64_e32 vcc, v[5:6], v[14:15]
	s_and_saveexec_b64 s[14:15], vcc
	s_cbranch_execz .LBB0_124
; %bb.122:
	s_mov_b64 s[16:17], 0
.LBB0_123:                              ; =>This Inner Loop Header: Depth=1
	s_sleep 1
	global_store_dwordx2 v[7:8], v[5:6], off
	v_mov_b32_e32 v3, s10
	v_mov_b32_e32 v4, s11
	s_waitcnt vmcnt(0)
	global_atomic_cmpswap_x2 v[3:4], v11, v[3:6], s[2:3] offset:32 glc
	s_waitcnt vmcnt(0)
	v_cmp_eq_u64_e32 vcc, v[3:4], v[5:6]
	v_mov_b32_e32 v6, v4
	s_or_b64 s[16:17], vcc, s[16:17]
	v_mov_b32_e32 v5, v3
	s_andn2_b64 exec, exec, s[16:17]
	s_cbranch_execnz .LBB0_123
.LBB0_124:
	s_or_b64 exec, exec, s[14:15]
	v_mov_b32_e32 v6, 0
	global_load_dwordx2 v[3:4], v6, s[2:3] offset:16
	s_mov_b64 s[14:15], exec
	v_mbcnt_lo_u32_b32 v5, s14, 0
	v_mbcnt_hi_u32_b32 v5, s15, v5
	v_cmp_eq_u32_e32 vcc, 0, v5
	s_and_saveexec_b64 s[16:17], vcc
	s_cbranch_execz .LBB0_126
; %bb.125:
	s_bcnt1_i32_b64 s14, s[14:15]
	v_mov_b32_e32 v5, s14
	s_waitcnt vmcnt(0)
	global_atomic_add_x2 v[3:4], v[5:6], off offset:8
.LBB0_126:
	s_or_b64 exec, exec, s[16:17]
	s_waitcnt vmcnt(0)
	global_load_dwordx2 v[5:6], v[3:4], off offset:16
	s_waitcnt vmcnt(0)
	v_cmp_eq_u64_e32 vcc, 0, v[5:6]
	s_cbranch_vccnz .LBB0_128
; %bb.127:
	global_load_dword v3, v[3:4], off offset:24
	v_mov_b32_e32 v4, 0
	s_waitcnt vmcnt(0)
	v_readfirstlane_b32 s14, v3
	s_and_b32 m0, s14, 0xffffff
	global_store_dwordx2 v[5:6], v[3:4], off
	s_sendmsg sendmsg(MSG_INTERRUPT)
.LBB0_128:
	s_or_b64 exec, exec, s[12:13]
	s_branch .LBB0_132
.LBB0_129:                              ;   in Loop: Header=BB0_132 Depth=1
	s_or_b64 exec, exec, s[12:13]
	v_readfirstlane_b32 s12, v3
	s_cmp_eq_u32 s12, 0
	s_cbranch_scc1 .LBB0_131
; %bb.130:                              ;   in Loop: Header=BB0_132 Depth=1
	s_sleep 1
	s_cbranch_execnz .LBB0_132
	s_branch .LBB0_134
.LBB0_131:
	s_branch .LBB0_134
.LBB0_132:                              ; =>This Inner Loop Header: Depth=1
	v_mov_b32_e32 v3, 1
	s_and_saveexec_b64 s[12:13], s[0:1]
	s_cbranch_execz .LBB0_129
; %bb.133:                              ;   in Loop: Header=BB0_132 Depth=1
	global_load_dword v3, v[0:1], off offset:20 glc
	s_waitcnt vmcnt(0)
	buffer_wbinvl1_vol
	v_and_b32_e32 v3, 1, v3
	s_branch .LBB0_129
.LBB0_134:
	global_load_dwordx2 v[5:6], v[9:10], off
	s_and_saveexec_b64 s[12:13], s[0:1]
	s_cbranch_execz .LBB0_137
; %bb.135:
	v_mov_b32_e32 v3, 0
	global_load_dwordx2 v[0:1], v3, s[2:3] offset:40
	global_load_dwordx2 v[11:12], v3, s[2:3] offset:24 glc
	global_load_dwordx2 v[7:8], v3, s[2:3]
	s_waitcnt vmcnt(2)
	v_readfirstlane_b32 s14, v0
	v_readfirstlane_b32 s15, v1
	s_add_u32 s16, s14, 1
	s_addc_u32 s17, s15, 0
	s_add_u32 s0, s16, s10
	s_addc_u32 s1, s17, s11
	s_cmp_eq_u64 s[0:1], 0
	s_cselect_b32 s1, s17, s1
	s_cselect_b32 s0, s16, s0
	s_and_b64 s[10:11], s[0:1], s[14:15]
	s_mul_i32 s11, s11, 24
	s_mul_hi_u32 s14, s10, 24
	s_mul_i32 s10, s10, 24
	s_add_i32 s11, s14, s11
	v_mov_b32_e32 v1, s11
	s_waitcnt vmcnt(0)
	v_add_co_u32_e32 v0, vcc, s10, v7
	v_addc_co_u32_e32 v1, vcc, v8, v1, vcc
	v_mov_b32_e32 v9, s0
	global_store_dwordx2 v[0:1], v[11:12], off
	v_mov_b32_e32 v10, s1
	s_waitcnt vmcnt(0)
	global_atomic_cmpswap_x2 v[9:10], v3, v[9:12], s[2:3] offset:24 glc
	s_mov_b64 s[10:11], 0
	s_waitcnt vmcnt(0)
	v_cmp_ne_u64_e32 vcc, v[9:10], v[11:12]
	s_and_b64 exec, exec, vcc
	s_cbranch_execz .LBB0_137
.LBB0_136:                              ; =>This Inner Loop Header: Depth=1
	s_sleep 1
	global_store_dwordx2 v[0:1], v[9:10], off
	v_mov_b32_e32 v7, s0
	v_mov_b32_e32 v8, s1
	s_waitcnt vmcnt(0)
	global_atomic_cmpswap_x2 v[7:8], v3, v[7:10], s[2:3] offset:24 glc
	s_waitcnt vmcnt(0)
	v_cmp_eq_u64_e32 vcc, v[7:8], v[9:10]
	v_mov_b32_e32 v10, v8
	s_or_b64 s[10:11], vcc, s[10:11]
	v_mov_b32_e32 v9, v7
	s_andn2_b64 exec, exec, s[10:11]
	s_cbranch_execnz .LBB0_136
.LBB0_137:
	s_or_b64 exec, exec, s[12:13]
.LBB0_138:
	v_readfirstlane_b32 s0, v33
	v_mov_b32_e32 v0, 0
	v_mov_b32_e32 v1, 0
	v_cmp_eq_u32_e64 s[0:1], s0, v33
	s_and_saveexec_b64 s[10:11], s[0:1]
	s_cbranch_execz .LBB0_144
; %bb.139:
	s_waitcnt vmcnt(0)
	v_mov_b32_e32 v3, 0
	global_load_dwordx2 v[9:10], v3, s[2:3] offset:24 glc
	s_waitcnt vmcnt(0)
	buffer_wbinvl1_vol
	global_load_dwordx2 v[0:1], v3, s[2:3] offset:40
	global_load_dwordx2 v[7:8], v3, s[2:3]
	s_waitcnt vmcnt(1)
	v_and_b32_e32 v0, v0, v9
	v_and_b32_e32 v1, v1, v10
	v_mul_lo_u32 v1, v1, 24
	v_mul_hi_u32 v4, v0, 24
	v_mul_lo_u32 v0, v0, 24
	v_add_u32_e32 v1, v4, v1
	s_waitcnt vmcnt(0)
	v_add_co_u32_e32 v0, vcc, v7, v0
	v_addc_co_u32_e32 v1, vcc, v8, v1, vcc
	global_load_dwordx2 v[7:8], v[0:1], off glc
	s_waitcnt vmcnt(0)
	global_atomic_cmpswap_x2 v[0:1], v3, v[7:10], s[2:3] offset:24 glc
	s_waitcnt vmcnt(0)
	buffer_wbinvl1_vol
	v_cmp_ne_u64_e32 vcc, v[0:1], v[9:10]
	s_and_saveexec_b64 s[12:13], vcc
	s_cbranch_execz .LBB0_143
; %bb.140:
	s_mov_b64 s[14:15], 0
.LBB0_141:                              ; =>This Inner Loop Header: Depth=1
	s_sleep 1
	global_load_dwordx2 v[7:8], v3, s[2:3] offset:40
	global_load_dwordx2 v[11:12], v3, s[2:3]
	v_mov_b32_e32 v10, v1
	v_mov_b32_e32 v9, v0
	s_waitcnt vmcnt(1)
	v_and_b32_e32 v0, v7, v9
	s_waitcnt vmcnt(0)
	v_mad_u64_u32 v[0:1], s[16:17], v0, 24, v[11:12]
	v_and_b32_e32 v4, v8, v10
	v_mad_u64_u32 v[7:8], s[16:17], v4, 24, v[1:2]
	v_mov_b32_e32 v1, v7
	global_load_dwordx2 v[7:8], v[0:1], off glc
	s_waitcnt vmcnt(0)
	global_atomic_cmpswap_x2 v[0:1], v3, v[7:10], s[2:3] offset:24 glc
	s_waitcnt vmcnt(0)
	buffer_wbinvl1_vol
	v_cmp_eq_u64_e32 vcc, v[0:1], v[9:10]
	s_or_b64 s[14:15], vcc, s[14:15]
	s_andn2_b64 exec, exec, s[14:15]
	s_cbranch_execnz .LBB0_141
; %bb.142:
	s_or_b64 exec, exec, s[14:15]
.LBB0_143:
	s_or_b64 exec, exec, s[12:13]
.LBB0_144:
	s_or_b64 exec, exec, s[10:11]
	v_mov_b32_e32 v8, 0
	global_load_dwordx2 v[3:4], v8, s[2:3] offset:40
	global_load_dwordx4 v[9:12], v8, s[2:3]
	v_readfirstlane_b32 s11, v1
	v_readfirstlane_b32 s10, v0
	s_mov_b64 s[12:13], exec
	s_waitcnt vmcnt(1)
	v_readfirstlane_b32 s14, v3
	v_readfirstlane_b32 s15, v4
	s_and_b64 s[14:15], s[14:15], s[10:11]
	s_mul_i32 s16, s15, 24
	s_mul_hi_u32 s17, s14, 24
	s_mul_i32 s18, s14, 24
	s_add_i32 s16, s17, s16
	v_mov_b32_e32 v1, s16
	s_waitcnt vmcnt(0)
	v_add_co_u32_e32 v0, vcc, s18, v9
	v_addc_co_u32_e32 v1, vcc, v10, v1, vcc
	s_and_saveexec_b64 s[16:17], s[0:1]
	s_cbranch_execz .LBB0_146
; %bb.145:
	v_mov_b32_e32 v14, s13
	v_mov_b32_e32 v13, s12
	;; [unrolled: 1-line block ×4, first 2 shown]
	global_store_dwordx4 v[0:1], v[13:16], off offset:8
.LBB0_146:
	s_or_b64 exec, exec, s[16:17]
	s_load_dword s22, s[4:5], 0x0
	s_lshl_b64 s[12:13], s[14:15], 12
	v_mov_b32_e32 v3, s13
	v_add_co_u32_e32 v4, vcc, s12, v11
	v_addc_co_u32_e32 v3, vcc, v12, v3, vcc
	s_movk_i32 s13, 0xff1f
	s_mov_b32 s12, 0
	v_and_or_b32 v5, v5, s13, 32
	v_add_co_u32_e32 v11, vcc, v4, v32
	s_waitcnt lgkmcnt(0)
	v_mov_b32_e32 v7, s22
	v_readfirstlane_b32 s16, v4
	v_readfirstlane_b32 s17, v3
	v_addc_co_u32_e32 v12, vcc, 0, v3, vcc
	s_mov_b32 s13, s12
	s_mov_b32 s14, s12
	;; [unrolled: 1-line block ×3, first 2 shown]
	s_nop 0
	global_store_dwordx4 v32, v[5:8], s[16:17]
	v_mov_b32_e32 v3, s12
	v_mov_b32_e32 v4, s13
	;; [unrolled: 1-line block ×4, first 2 shown]
	global_store_dwordx4 v32, v[3:6], s[16:17] offset:16
	global_store_dwordx4 v32, v[3:6], s[16:17] offset:32
	;; [unrolled: 1-line block ×3, first 2 shown]
	s_and_saveexec_b64 s[12:13], s[0:1]
	s_cbranch_execz .LBB0_154
; %bb.147:
	v_mov_b32_e32 v13, 0
	global_load_dwordx2 v[16:17], v13, s[2:3] offset:32 glc
	global_load_dwordx2 v[3:4], v13, s[2:3] offset:40
	v_mov_b32_e32 v14, s10
	v_mov_b32_e32 v15, s11
	s_waitcnt vmcnt(0)
	v_readfirstlane_b32 s14, v3
	v_readfirstlane_b32 s15, v4
	s_and_b64 s[14:15], s[14:15], s[10:11]
	s_mul_i32 s15, s15, 24
	s_mul_hi_u32 s16, s14, 24
	s_mul_i32 s14, s14, 24
	s_add_i32 s15, s16, s15
	v_mov_b32_e32 v3, s15
	v_add_co_u32_e32 v7, vcc, s14, v9
	v_addc_co_u32_e32 v8, vcc, v10, v3, vcc
	global_store_dwordx2 v[7:8], v[16:17], off
	s_waitcnt vmcnt(0)
	global_atomic_cmpswap_x2 v[5:6], v13, v[14:17], s[2:3] offset:32 glc
	s_waitcnt vmcnt(0)
	v_cmp_ne_u64_e32 vcc, v[5:6], v[16:17]
	s_and_saveexec_b64 s[14:15], vcc
	s_cbranch_execz .LBB0_150
; %bb.148:
	s_mov_b64 s[16:17], 0
.LBB0_149:                              ; =>This Inner Loop Header: Depth=1
	s_sleep 1
	global_store_dwordx2 v[7:8], v[5:6], off
	v_mov_b32_e32 v3, s10
	v_mov_b32_e32 v4, s11
	s_waitcnt vmcnt(0)
	global_atomic_cmpswap_x2 v[3:4], v13, v[3:6], s[2:3] offset:32 glc
	s_waitcnt vmcnt(0)
	v_cmp_eq_u64_e32 vcc, v[3:4], v[5:6]
	v_mov_b32_e32 v6, v4
	s_or_b64 s[16:17], vcc, s[16:17]
	v_mov_b32_e32 v5, v3
	s_andn2_b64 exec, exec, s[16:17]
	s_cbranch_execnz .LBB0_149
.LBB0_150:
	s_or_b64 exec, exec, s[14:15]
	v_mov_b32_e32 v6, 0
	global_load_dwordx2 v[3:4], v6, s[2:3] offset:16
	s_mov_b64 s[14:15], exec
	v_mbcnt_lo_u32_b32 v5, s14, 0
	v_mbcnt_hi_u32_b32 v5, s15, v5
	v_cmp_eq_u32_e32 vcc, 0, v5
	s_and_saveexec_b64 s[16:17], vcc
	s_cbranch_execz .LBB0_152
; %bb.151:
	s_bcnt1_i32_b64 s14, s[14:15]
	v_mov_b32_e32 v5, s14
	s_waitcnt vmcnt(0)
	global_atomic_add_x2 v[3:4], v[5:6], off offset:8
.LBB0_152:
	s_or_b64 exec, exec, s[16:17]
	s_waitcnt vmcnt(0)
	global_load_dwordx2 v[5:6], v[3:4], off offset:16
	s_waitcnt vmcnt(0)
	v_cmp_eq_u64_e32 vcc, 0, v[5:6]
	s_cbranch_vccnz .LBB0_154
; %bb.153:
	global_load_dword v3, v[3:4], off offset:24
	v_mov_b32_e32 v4, 0
	s_waitcnt vmcnt(0)
	v_readfirstlane_b32 s14, v3
	s_and_b32 m0, s14, 0xffffff
	global_store_dwordx2 v[5:6], v[3:4], off
	s_sendmsg sendmsg(MSG_INTERRUPT)
.LBB0_154:
	s_or_b64 exec, exec, s[12:13]
	s_branch .LBB0_158
.LBB0_155:                              ;   in Loop: Header=BB0_158 Depth=1
	s_or_b64 exec, exec, s[12:13]
	v_readfirstlane_b32 s12, v3
	s_cmp_eq_u32 s12, 0
	s_cbranch_scc1 .LBB0_157
; %bb.156:                              ;   in Loop: Header=BB0_158 Depth=1
	s_sleep 1
	s_cbranch_execnz .LBB0_158
	s_branch .LBB0_160
.LBB0_157:
	s_branch .LBB0_160
.LBB0_158:                              ; =>This Inner Loop Header: Depth=1
	v_mov_b32_e32 v3, 1
	s_and_saveexec_b64 s[12:13], s[0:1]
	s_cbranch_execz .LBB0_155
; %bb.159:                              ;   in Loop: Header=BB0_158 Depth=1
	global_load_dword v3, v[0:1], off offset:20 glc
	s_waitcnt vmcnt(0)
	buffer_wbinvl1_vol
	v_and_b32_e32 v3, 1, v3
	s_branch .LBB0_155
.LBB0_160:
	global_load_dwordx2 v[3:4], v[11:12], off
	s_and_saveexec_b64 s[12:13], s[0:1]
	s_cbranch_execz .LBB0_163
; %bb.161:
	v_mov_b32_e32 v9, 0
	global_load_dwordx2 v[0:1], v9, s[2:3] offset:40
	global_load_dwordx2 v[12:13], v9, s[2:3] offset:24 glc
	global_load_dwordx2 v[5:6], v9, s[2:3]
	s_waitcnt vmcnt(2)
	v_readfirstlane_b32 s14, v0
	v_readfirstlane_b32 s15, v1
	s_add_u32 s16, s14, 1
	s_addc_u32 s17, s15, 0
	s_add_u32 s0, s16, s10
	s_addc_u32 s1, s17, s11
	s_cmp_eq_u64 s[0:1], 0
	s_cselect_b32 s1, s17, s1
	s_cselect_b32 s0, s16, s0
	s_and_b64 s[10:11], s[0:1], s[14:15]
	s_mul_i32 s11, s11, 24
	s_mul_hi_u32 s14, s10, 24
	s_mul_i32 s10, s10, 24
	s_add_i32 s11, s14, s11
	v_mov_b32_e32 v1, s11
	s_waitcnt vmcnt(0)
	v_add_co_u32_e32 v0, vcc, s10, v5
	v_addc_co_u32_e32 v1, vcc, v6, v1, vcc
	v_mov_b32_e32 v10, s0
	global_store_dwordx2 v[0:1], v[12:13], off
	v_mov_b32_e32 v11, s1
	s_waitcnt vmcnt(0)
	global_atomic_cmpswap_x2 v[7:8], v9, v[10:13], s[2:3] offset:24 glc
	s_mov_b64 s[10:11], 0
	s_waitcnt vmcnt(0)
	v_cmp_ne_u64_e32 vcc, v[7:8], v[12:13]
	s_and_b64 exec, exec, vcc
	s_cbranch_execz .LBB0_163
.LBB0_162:                              ; =>This Inner Loop Header: Depth=1
	s_sleep 1
	global_store_dwordx2 v[0:1], v[7:8], off
	v_mov_b32_e32 v5, s0
	v_mov_b32_e32 v6, s1
	s_waitcnt vmcnt(0)
	global_atomic_cmpswap_x2 v[5:6], v9, v[5:8], s[2:3] offset:24 glc
	s_waitcnt vmcnt(0)
	v_cmp_eq_u64_e32 vcc, v[5:6], v[7:8]
	v_mov_b32_e32 v8, v6
	s_or_b64 s[10:11], vcc, s[10:11]
	v_mov_b32_e32 v7, v5
	s_andn2_b64 exec, exec, s[10:11]
	s_cbranch_execnz .LBB0_162
.LBB0_163:
	s_or_b64 exec, exec, s[12:13]
	v_readfirstlane_b32 s0, v33
	v_mov_b32_e32 v0, 0
	v_mov_b32_e32 v1, 0
	v_cmp_eq_u32_e64 s[0:1], s0, v33
	s_and_saveexec_b64 s[10:11], s[0:1]
	s_cbranch_execz .LBB0_169
; %bb.164:
	v_mov_b32_e32 v5, 0
	global_load_dwordx2 v[8:9], v5, s[2:3] offset:24 glc
	s_waitcnt vmcnt(0)
	buffer_wbinvl1_vol
	global_load_dwordx2 v[0:1], v5, s[2:3] offset:40
	global_load_dwordx2 v[6:7], v5, s[2:3]
	s_waitcnt vmcnt(1)
	v_and_b32_e32 v0, v0, v8
	v_and_b32_e32 v1, v1, v9
	v_mul_lo_u32 v1, v1, 24
	v_mul_hi_u32 v10, v0, 24
	v_mul_lo_u32 v0, v0, 24
	v_add_u32_e32 v1, v10, v1
	s_waitcnt vmcnt(0)
	v_add_co_u32_e32 v0, vcc, v6, v0
	v_addc_co_u32_e32 v1, vcc, v7, v1, vcc
	global_load_dwordx2 v[6:7], v[0:1], off glc
	s_waitcnt vmcnt(0)
	global_atomic_cmpswap_x2 v[0:1], v5, v[6:9], s[2:3] offset:24 glc
	s_waitcnt vmcnt(0)
	buffer_wbinvl1_vol
	v_cmp_ne_u64_e32 vcc, v[0:1], v[8:9]
	s_and_saveexec_b64 s[12:13], vcc
	s_cbranch_execz .LBB0_168
; %bb.165:
	s_mov_b64 s[14:15], 0
.LBB0_166:                              ; =>This Inner Loop Header: Depth=1
	s_sleep 1
	global_load_dwordx2 v[6:7], v5, s[2:3] offset:40
	global_load_dwordx2 v[10:11], v5, s[2:3]
	v_mov_b32_e32 v9, v1
	v_mov_b32_e32 v8, v0
	s_waitcnt vmcnt(1)
	v_and_b32_e32 v0, v6, v8
	s_waitcnt vmcnt(0)
	v_mad_u64_u32 v[0:1], s[16:17], v0, 24, v[10:11]
	v_and_b32_e32 v6, v7, v9
	v_mad_u64_u32 v[6:7], s[16:17], v6, 24, v[1:2]
	v_mov_b32_e32 v1, v6
	global_load_dwordx2 v[6:7], v[0:1], off glc
	s_waitcnt vmcnt(0)
	global_atomic_cmpswap_x2 v[0:1], v5, v[6:9], s[2:3] offset:24 glc
	s_waitcnt vmcnt(0)
	buffer_wbinvl1_vol
	v_cmp_eq_u64_e32 vcc, v[0:1], v[8:9]
	s_or_b64 s[14:15], vcc, s[14:15]
	s_andn2_b64 exec, exec, s[14:15]
	s_cbranch_execnz .LBB0_166
; %bb.167:
	s_or_b64 exec, exec, s[14:15]
.LBB0_168:
	s_or_b64 exec, exec, s[12:13]
.LBB0_169:
	s_or_b64 exec, exec, s[10:11]
	v_mov_b32_e32 v6, 0
	global_load_dwordx2 v[11:12], v6, s[2:3] offset:40
	global_load_dwordx4 v[7:10], v6, s[2:3]
	v_readfirstlane_b32 s11, v1
	v_readfirstlane_b32 s10, v0
	s_mov_b64 s[12:13], exec
	s_waitcnt vmcnt(1)
	v_readfirstlane_b32 s14, v11
	v_readfirstlane_b32 s15, v12
	s_and_b64 s[14:15], s[14:15], s[10:11]
	s_mul_i32 s16, s15, 24
	s_mul_hi_u32 s17, s14, 24
	s_mul_i32 s18, s14, 24
	s_add_i32 s16, s17, s16
	v_mov_b32_e32 v1, s16
	s_waitcnt vmcnt(0)
	v_add_co_u32_e32 v0, vcc, s18, v7
	v_addc_co_u32_e32 v1, vcc, v8, v1, vcc
	s_and_saveexec_b64 s[16:17], s[0:1]
	s_cbranch_execz .LBB0_171
; %bb.170:
	v_mov_b32_e32 v11, s12
	v_mov_b32_e32 v12, s13
	;; [unrolled: 1-line block ×4, first 2 shown]
	global_store_dwordx4 v[0:1], v[11:14], off offset:8
.LBB0_171:
	s_or_b64 exec, exec, s[16:17]
	s_load_dword s23, s[4:5], 0x10
	s_lshl_b64 s[12:13], s[14:15], 12
	v_mov_b32_e32 v5, s13
	v_add_co_u32_e32 v11, vcc, s12, v9
	v_addc_co_u32_e32 v12, vcc, v10, v5, vcc
	s_movk_i32 s4, 0xff1f
	s_mov_b32 s12, 0
	v_and_or_b32 v3, v3, s4, 32
	s_waitcnt lgkmcnt(0)
	v_mov_b32_e32 v5, s23
	v_readfirstlane_b32 s4, v11
	v_readfirstlane_b32 s5, v12
	v_add_co_u32_e32 v9, vcc, v11, v32
	s_mov_b32 s13, s12
	s_mov_b32 s14, s12
	;; [unrolled: 1-line block ×3, first 2 shown]
	s_nop 0
	global_store_dwordx4 v32, v[3:6], s[4:5]
	v_addc_co_u32_e32 v10, vcc, 0, v12, vcc
	v_mov_b32_e32 v3, s12
	v_mov_b32_e32 v4, s13
	;; [unrolled: 1-line block ×4, first 2 shown]
	global_store_dwordx4 v32, v[3:6], s[4:5] offset:16
	global_store_dwordx4 v32, v[3:6], s[4:5] offset:32
	;; [unrolled: 1-line block ×3, first 2 shown]
	s_and_saveexec_b64 s[4:5], s[0:1]
	s_cbranch_execz .LBB0_179
; %bb.172:
	v_mov_b32_e32 v11, 0
	global_load_dwordx2 v[14:15], v11, s[2:3] offset:32 glc
	global_load_dwordx2 v[3:4], v11, s[2:3] offset:40
	v_mov_b32_e32 v12, s10
	v_mov_b32_e32 v13, s11
	s_waitcnt vmcnt(0)
	v_readfirstlane_b32 s12, v3
	v_readfirstlane_b32 s13, v4
	s_and_b64 s[12:13], s[12:13], s[10:11]
	s_mul_i32 s13, s13, 24
	s_mul_hi_u32 s14, s12, 24
	s_mul_i32 s12, s12, 24
	s_add_i32 s13, s14, s13
	v_mov_b32_e32 v3, s13
	v_add_co_u32_e32 v7, vcc, s12, v7
	v_addc_co_u32_e32 v8, vcc, v8, v3, vcc
	global_store_dwordx2 v[7:8], v[14:15], off
	s_waitcnt vmcnt(0)
	global_atomic_cmpswap_x2 v[5:6], v11, v[12:15], s[2:3] offset:32 glc
	s_waitcnt vmcnt(0)
	v_cmp_ne_u64_e32 vcc, v[5:6], v[14:15]
	s_and_saveexec_b64 s[12:13], vcc
	s_cbranch_execz .LBB0_175
; %bb.173:
	s_mov_b64 s[14:15], 0
.LBB0_174:                              ; =>This Inner Loop Header: Depth=1
	s_sleep 1
	global_store_dwordx2 v[7:8], v[5:6], off
	v_mov_b32_e32 v3, s10
	v_mov_b32_e32 v4, s11
	s_waitcnt vmcnt(0)
	global_atomic_cmpswap_x2 v[3:4], v11, v[3:6], s[2:3] offset:32 glc
	s_waitcnt vmcnt(0)
	v_cmp_eq_u64_e32 vcc, v[3:4], v[5:6]
	v_mov_b32_e32 v6, v4
	s_or_b64 s[14:15], vcc, s[14:15]
	v_mov_b32_e32 v5, v3
	s_andn2_b64 exec, exec, s[14:15]
	s_cbranch_execnz .LBB0_174
.LBB0_175:
	s_or_b64 exec, exec, s[12:13]
	v_mov_b32_e32 v6, 0
	global_load_dwordx2 v[3:4], v6, s[2:3] offset:16
	s_mov_b64 s[12:13], exec
	v_mbcnt_lo_u32_b32 v5, s12, 0
	v_mbcnt_hi_u32_b32 v5, s13, v5
	v_cmp_eq_u32_e32 vcc, 0, v5
	s_and_saveexec_b64 s[14:15], vcc
	s_cbranch_execz .LBB0_177
; %bb.176:
	s_bcnt1_i32_b64 s12, s[12:13]
	v_mov_b32_e32 v5, s12
	s_waitcnt vmcnt(0)
	global_atomic_add_x2 v[3:4], v[5:6], off offset:8
.LBB0_177:
	s_or_b64 exec, exec, s[14:15]
	s_waitcnt vmcnt(0)
	global_load_dwordx2 v[5:6], v[3:4], off offset:16
	s_waitcnt vmcnt(0)
	v_cmp_eq_u64_e32 vcc, 0, v[5:6]
	s_cbranch_vccnz .LBB0_179
; %bb.178:
	global_load_dword v3, v[3:4], off offset:24
	v_mov_b32_e32 v4, 0
	s_waitcnt vmcnt(0)
	v_readfirstlane_b32 s12, v3
	s_and_b32 m0, s12, 0xffffff
	global_store_dwordx2 v[5:6], v[3:4], off
	s_sendmsg sendmsg(MSG_INTERRUPT)
.LBB0_179:
	s_or_b64 exec, exec, s[4:5]
	s_branch .LBB0_183
.LBB0_180:                              ;   in Loop: Header=BB0_183 Depth=1
	s_or_b64 exec, exec, s[4:5]
	v_readfirstlane_b32 s4, v3
	s_cmp_eq_u32 s4, 0
	s_cbranch_scc1 .LBB0_182
; %bb.181:                              ;   in Loop: Header=BB0_183 Depth=1
	s_sleep 1
	s_cbranch_execnz .LBB0_183
	s_branch .LBB0_185
.LBB0_182:
	s_branch .LBB0_185
.LBB0_183:                              ; =>This Inner Loop Header: Depth=1
	v_mov_b32_e32 v3, 1
	s_and_saveexec_b64 s[4:5], s[0:1]
	s_cbranch_execz .LBB0_180
; %bb.184:                              ;   in Loop: Header=BB0_183 Depth=1
	global_load_dword v3, v[0:1], off offset:20 glc
	s_waitcnt vmcnt(0)
	buffer_wbinvl1_vol
	v_and_b32_e32 v3, 1, v3
	s_branch .LBB0_180
.LBB0_185:
	global_load_dwordx2 v[0:1], v[9:10], off
	s_and_saveexec_b64 s[4:5], s[0:1]
	s_cbranch_execz .LBB0_188
; %bb.186:
	v_mov_b32_e32 v9, 0
	global_load_dwordx2 v[3:4], v9, s[2:3] offset:40
	global_load_dwordx2 v[12:13], v9, s[2:3] offset:24 glc
	global_load_dwordx2 v[5:6], v9, s[2:3]
	s_waitcnt vmcnt(2)
	v_readfirstlane_b32 s12, v3
	v_readfirstlane_b32 s13, v4
	s_add_u32 s14, s12, 1
	s_addc_u32 s15, s13, 0
	s_add_u32 s0, s14, s10
	s_addc_u32 s1, s15, s11
	s_cmp_eq_u64 s[0:1], 0
	s_cselect_b32 s1, s15, s1
	s_cselect_b32 s0, s14, s0
	s_and_b64 s[10:11], s[0:1], s[12:13]
	s_mul_i32 s11, s11, 24
	s_mul_hi_u32 s12, s10, 24
	s_mul_i32 s10, s10, 24
	s_add_i32 s11, s12, s11
	v_mov_b32_e32 v3, s11
	s_waitcnt vmcnt(0)
	v_add_co_u32_e32 v7, vcc, s10, v5
	v_addc_co_u32_e32 v8, vcc, v6, v3, vcc
	v_mov_b32_e32 v10, s0
	global_store_dwordx2 v[7:8], v[12:13], off
	v_mov_b32_e32 v11, s1
	s_waitcnt vmcnt(0)
	global_atomic_cmpswap_x2 v[5:6], v9, v[10:13], s[2:3] offset:24 glc
	s_mov_b64 s[10:11], 0
	s_waitcnt vmcnt(0)
	v_cmp_ne_u64_e32 vcc, v[5:6], v[12:13]
	s_and_b64 exec, exec, vcc
	s_cbranch_execz .LBB0_188
.LBB0_187:                              ; =>This Inner Loop Header: Depth=1
	s_sleep 1
	global_store_dwordx2 v[7:8], v[5:6], off
	v_mov_b32_e32 v3, s0
	v_mov_b32_e32 v4, s1
	s_waitcnt vmcnt(0)
	global_atomic_cmpswap_x2 v[3:4], v9, v[3:6], s[2:3] offset:24 glc
	s_waitcnt vmcnt(0)
	v_cmp_eq_u64_e32 vcc, v[3:4], v[5:6]
	v_mov_b32_e32 v6, v4
	s_or_b64 s[10:11], vcc, s[10:11]
	v_mov_b32_e32 v5, v3
	s_andn2_b64 exec, exec, s[10:11]
	s_cbranch_execnz .LBB0_187
.LBB0_188:
	s_or_b64 exec, exec, s[4:5]
	v_readfirstlane_b32 s0, v33
	v_mov_b32_e32 v8, 0
	v_mov_b32_e32 v9, 0
	v_cmp_eq_u32_e64 s[0:1], s0, v33
	s_and_saveexec_b64 s[4:5], s[0:1]
	s_cbranch_execz .LBB0_194
; %bb.189:
	v_mov_b32_e32 v3, 0
	global_load_dwordx2 v[6:7], v3, s[2:3] offset:24 glc
	s_waitcnt vmcnt(0)
	buffer_wbinvl1_vol
	global_load_dwordx2 v[4:5], v3, s[2:3] offset:40
	global_load_dwordx2 v[8:9], v3, s[2:3]
	s_waitcnt vmcnt(1)
	v_and_b32_e32 v4, v4, v6
	v_and_b32_e32 v5, v5, v7
	v_mul_lo_u32 v5, v5, 24
	v_mul_hi_u32 v10, v4, 24
	v_mul_lo_u32 v4, v4, 24
	v_add_u32_e32 v5, v10, v5
	s_waitcnt vmcnt(0)
	v_add_co_u32_e32 v4, vcc, v8, v4
	v_addc_co_u32_e32 v5, vcc, v9, v5, vcc
	global_load_dwordx2 v[4:5], v[4:5], off glc
	s_waitcnt vmcnt(0)
	global_atomic_cmpswap_x2 v[8:9], v3, v[4:7], s[2:3] offset:24 glc
	s_waitcnt vmcnt(0)
	buffer_wbinvl1_vol
	v_cmp_ne_u64_e32 vcc, v[8:9], v[6:7]
	s_and_saveexec_b64 s[10:11], vcc
	s_cbranch_execz .LBB0_193
; %bb.190:
	s_mov_b64 s[12:13], 0
.LBB0_191:                              ; =>This Inner Loop Header: Depth=1
	s_sleep 1
	global_load_dwordx2 v[4:5], v3, s[2:3] offset:40
	global_load_dwordx2 v[10:11], v3, s[2:3]
	v_mov_b32_e32 v6, v8
	v_mov_b32_e32 v7, v9
	s_waitcnt vmcnt(1)
	v_and_b32_e32 v4, v4, v6
	s_waitcnt vmcnt(0)
	v_mad_u64_u32 v[8:9], s[14:15], v4, 24, v[10:11]
	v_and_b32_e32 v5, v5, v7
	v_mov_b32_e32 v4, v9
	v_mad_u64_u32 v[4:5], s[14:15], v5, 24, v[4:5]
	v_mov_b32_e32 v9, v4
	global_load_dwordx2 v[4:5], v[8:9], off glc
	s_waitcnt vmcnt(0)
	global_atomic_cmpswap_x2 v[8:9], v3, v[4:7], s[2:3] offset:24 glc
	s_waitcnt vmcnt(0)
	buffer_wbinvl1_vol
	v_cmp_eq_u64_e32 vcc, v[8:9], v[6:7]
	s_or_b64 s[12:13], vcc, s[12:13]
	s_andn2_b64 exec, exec, s[12:13]
	s_cbranch_execnz .LBB0_191
; %bb.192:
	s_or_b64 exec, exec, s[12:13]
.LBB0_193:
	s_or_b64 exec, exec, s[10:11]
.LBB0_194:
	s_or_b64 exec, exec, s[4:5]
	v_mov_b32_e32 v3, 0
	global_load_dwordx2 v[10:11], v3, s[2:3] offset:40
	global_load_dwordx4 v[4:7], v3, s[2:3]
	v_readfirstlane_b32 s5, v9
	v_readfirstlane_b32 s4, v8
	s_mov_b64 s[10:11], exec
	s_waitcnt vmcnt(1)
	v_readfirstlane_b32 s12, v10
	v_readfirstlane_b32 s13, v11
	s_and_b64 s[12:13], s[12:13], s[4:5]
	s_mul_i32 s14, s13, 24
	s_mul_hi_u32 s15, s12, 24
	s_mul_i32 s16, s12, 24
	s_add_i32 s14, s15, s14
	v_mov_b32_e32 v9, s14
	s_waitcnt vmcnt(0)
	v_add_co_u32_e32 v8, vcc, s16, v4
	v_addc_co_u32_e32 v9, vcc, v5, v9, vcc
	s_and_saveexec_b64 s[14:15], s[0:1]
	s_cbranch_execz .LBB0_196
; %bb.195:
	v_mov_b32_e32 v10, s10
	v_mov_b32_e32 v11, s11
	;; [unrolled: 1-line block ×4, first 2 shown]
	global_store_dwordx4 v[8:9], v[10:13], off offset:8
.LBB0_196:
	s_or_b64 exec, exec, s[14:15]
	s_lshl_b64 s[10:11], s[12:13], 12
	v_mov_b32_e32 v10, s11
	v_add_co_u32_e32 v11, vcc, s10, v6
	v_addc_co_u32_e32 v10, vcc, v7, v10, vcc
	s_movk_i32 s10, 0xff1f
	v_and_or_b32 v0, v0, s10, 32
	v_readfirstlane_b32 s10, v11
	v_readfirstlane_b32 s11, v10
	s_mov_b32 s12, 0
	v_add_co_u32_e32 v6, vcc, v11, v32
	s_mov_b32 s13, s12
	s_mov_b32 s14, s12
	s_nop 0
	global_store_dwordx4 v32, v[0:3], s[10:11]
	s_mov_b32 s15, s12
	v_mov_b32_e32 v0, s12
	v_addc_co_u32_e32 v7, vcc, 0, v10, vcc
	v_mov_b32_e32 v1, s13
	v_mov_b32_e32 v2, s14
	;; [unrolled: 1-line block ×3, first 2 shown]
	global_store_dwordx4 v32, v[0:3], s[10:11] offset:16
	global_store_dwordx4 v32, v[0:3], s[10:11] offset:32
	global_store_dwordx4 v32, v[0:3], s[10:11] offset:48
	s_and_saveexec_b64 s[10:11], s[0:1]
	s_cbranch_execz .LBB0_204
; %bb.197:
	v_mov_b32_e32 v10, 0
	global_load_dwordx2 v[13:14], v10, s[2:3] offset:32 glc
	global_load_dwordx2 v[0:1], v10, s[2:3] offset:40
	v_mov_b32_e32 v11, s4
	v_mov_b32_e32 v12, s5
	s_waitcnt vmcnt(0)
	v_readfirstlane_b32 s12, v0
	v_readfirstlane_b32 s13, v1
	s_and_b64 s[12:13], s[12:13], s[4:5]
	s_mul_i32 s13, s13, 24
	s_mul_hi_u32 s14, s12, 24
	s_mul_i32 s12, s12, 24
	s_add_i32 s13, s14, s13
	v_mov_b32_e32 v0, s13
	v_add_co_u32_e32 v4, vcc, s12, v4
	v_addc_co_u32_e32 v5, vcc, v5, v0, vcc
	global_store_dwordx2 v[4:5], v[13:14], off
	s_waitcnt vmcnt(0)
	global_atomic_cmpswap_x2 v[2:3], v10, v[11:14], s[2:3] offset:32 glc
	s_waitcnt vmcnt(0)
	v_cmp_ne_u64_e32 vcc, v[2:3], v[13:14]
	s_and_saveexec_b64 s[12:13], vcc
	s_cbranch_execz .LBB0_200
; %bb.198:
	s_mov_b64 s[14:15], 0
.LBB0_199:                              ; =>This Inner Loop Header: Depth=1
	s_sleep 1
	global_store_dwordx2 v[4:5], v[2:3], off
	v_mov_b32_e32 v0, s4
	v_mov_b32_e32 v1, s5
	s_waitcnt vmcnt(0)
	global_atomic_cmpswap_x2 v[0:1], v10, v[0:3], s[2:3] offset:32 glc
	s_waitcnt vmcnt(0)
	v_cmp_eq_u64_e32 vcc, v[0:1], v[2:3]
	v_mov_b32_e32 v3, v1
	s_or_b64 s[14:15], vcc, s[14:15]
	v_mov_b32_e32 v2, v0
	s_andn2_b64 exec, exec, s[14:15]
	s_cbranch_execnz .LBB0_199
.LBB0_200:
	s_or_b64 exec, exec, s[12:13]
	v_mov_b32_e32 v3, 0
	global_load_dwordx2 v[0:1], v3, s[2:3] offset:16
	s_mov_b64 s[12:13], exec
	v_mbcnt_lo_u32_b32 v2, s12, 0
	v_mbcnt_hi_u32_b32 v2, s13, v2
	v_cmp_eq_u32_e32 vcc, 0, v2
	s_and_saveexec_b64 s[14:15], vcc
	s_cbranch_execz .LBB0_202
; %bb.201:
	s_bcnt1_i32_b64 s12, s[12:13]
	v_mov_b32_e32 v2, s12
	s_waitcnt vmcnt(0)
	global_atomic_add_x2 v[0:1], v[2:3], off offset:8
.LBB0_202:
	s_or_b64 exec, exec, s[14:15]
	s_waitcnt vmcnt(0)
	global_load_dwordx2 v[2:3], v[0:1], off offset:16
	s_waitcnt vmcnt(0)
	v_cmp_eq_u64_e32 vcc, 0, v[2:3]
	s_cbranch_vccnz .LBB0_204
; %bb.203:
	global_load_dword v0, v[0:1], off offset:24
	v_mov_b32_e32 v1, 0
	s_waitcnt vmcnt(0)
	v_readfirstlane_b32 s12, v0
	s_and_b32 m0, s12, 0xffffff
	global_store_dwordx2 v[2:3], v[0:1], off
	s_sendmsg sendmsg(MSG_INTERRUPT)
.LBB0_204:
	s_or_b64 exec, exec, s[10:11]
	s_branch .LBB0_208
.LBB0_205:                              ;   in Loop: Header=BB0_208 Depth=1
	s_or_b64 exec, exec, s[10:11]
	v_readfirstlane_b32 s10, v0
	s_cmp_eq_u32 s10, 0
	s_cbranch_scc1 .LBB0_207
; %bb.206:                              ;   in Loop: Header=BB0_208 Depth=1
	s_sleep 1
	s_cbranch_execnz .LBB0_208
	s_branch .LBB0_210
.LBB0_207:
	s_branch .LBB0_210
.LBB0_208:                              ; =>This Inner Loop Header: Depth=1
	v_mov_b32_e32 v0, 1
	s_and_saveexec_b64 s[10:11], s[0:1]
	s_cbranch_execz .LBB0_205
; %bb.209:                              ;   in Loop: Header=BB0_208 Depth=1
	global_load_dword v0, v[8:9], off offset:20 glc
	s_waitcnt vmcnt(0)
	buffer_wbinvl1_vol
	v_and_b32_e32 v0, 1, v0
	s_branch .LBB0_205
.LBB0_210:
	global_load_dwordx2 v[0:1], v[6:7], off
	s_and_saveexec_b64 s[10:11], s[0:1]
	s_cbranch_execz .LBB0_213
; %bb.211:
	v_mov_b32_e32 v8, 0
	global_load_dwordx2 v[2:3], v8, s[2:3] offset:40
	global_load_dwordx2 v[11:12], v8, s[2:3] offset:24 glc
	global_load_dwordx2 v[4:5], v8, s[2:3]
	s_waitcnt vmcnt(2)
	v_readfirstlane_b32 s12, v2
	v_readfirstlane_b32 s13, v3
	s_add_u32 s14, s12, 1
	s_addc_u32 s15, s13, 0
	s_add_u32 s0, s14, s4
	s_addc_u32 s1, s15, s5
	s_cmp_eq_u64 s[0:1], 0
	s_cselect_b32 s1, s15, s1
	s_cselect_b32 s0, s14, s0
	s_and_b64 s[4:5], s[0:1], s[12:13]
	s_mul_i32 s5, s5, 24
	s_mul_hi_u32 s12, s4, 24
	s_mul_i32 s4, s4, 24
	s_add_i32 s5, s12, s5
	v_mov_b32_e32 v2, s5
	s_waitcnt vmcnt(0)
	v_add_co_u32_e32 v6, vcc, s4, v4
	v_addc_co_u32_e32 v7, vcc, v5, v2, vcc
	v_mov_b32_e32 v9, s0
	global_store_dwordx2 v[6:7], v[11:12], off
	v_mov_b32_e32 v10, s1
	s_waitcnt vmcnt(0)
	global_atomic_cmpswap_x2 v[4:5], v8, v[9:12], s[2:3] offset:24 glc
	s_mov_b64 s[4:5], 0
	s_waitcnt vmcnt(0)
	v_cmp_ne_u64_e32 vcc, v[4:5], v[11:12]
	s_and_b64 exec, exec, vcc
	s_cbranch_execz .LBB0_213
.LBB0_212:                              ; =>This Inner Loop Header: Depth=1
	s_sleep 1
	global_store_dwordx2 v[6:7], v[4:5], off
	v_mov_b32_e32 v2, s0
	v_mov_b32_e32 v3, s1
	s_waitcnt vmcnt(0)
	global_atomic_cmpswap_x2 v[2:3], v8, v[2:5], s[2:3] offset:24 glc
	s_waitcnt vmcnt(0)
	v_cmp_eq_u64_e32 vcc, v[2:3], v[4:5]
	v_mov_b32_e32 v5, v3
	s_or_b64 s[4:5], vcc, s[4:5]
	v_mov_b32_e32 v4, v2
	s_andn2_b64 exec, exec, s[4:5]
	s_cbranch_execnz .LBB0_212
.LBB0_213:
	s_or_b64 exec, exec, s[10:11]
	v_readfirstlane_b32 s0, v33
	v_mov_b32_e32 v8, 0
	v_mov_b32_e32 v9, 0
	v_cmp_eq_u32_e64 s[0:1], s0, v33
	s_and_saveexec_b64 s[4:5], s[0:1]
	s_cbranch_execz .LBB0_219
; %bb.214:
	v_mov_b32_e32 v2, 0
	global_load_dwordx2 v[5:6], v2, s[2:3] offset:24 glc
	s_waitcnt vmcnt(0)
	buffer_wbinvl1_vol
	global_load_dwordx2 v[3:4], v2, s[2:3] offset:40
	global_load_dwordx2 v[7:8], v2, s[2:3]
	s_waitcnt vmcnt(1)
	v_and_b32_e32 v3, v3, v5
	v_and_b32_e32 v4, v4, v6
	v_mul_lo_u32 v4, v4, 24
	v_mul_hi_u32 v9, v3, 24
	v_mul_lo_u32 v3, v3, 24
	v_add_u32_e32 v4, v9, v4
	s_waitcnt vmcnt(0)
	v_add_co_u32_e32 v3, vcc, v7, v3
	v_addc_co_u32_e32 v4, vcc, v8, v4, vcc
	global_load_dwordx2 v[3:4], v[3:4], off glc
	s_waitcnt vmcnt(0)
	global_atomic_cmpswap_x2 v[8:9], v2, v[3:6], s[2:3] offset:24 glc
	s_waitcnt vmcnt(0)
	buffer_wbinvl1_vol
	v_cmp_ne_u64_e32 vcc, v[8:9], v[5:6]
	s_and_saveexec_b64 s[10:11], vcc
	s_cbranch_execz .LBB0_218
; %bb.215:
	s_mov_b64 s[12:13], 0
.LBB0_216:                              ; =>This Inner Loop Header: Depth=1
	s_sleep 1
	global_load_dwordx2 v[3:4], v2, s[2:3] offset:40
	global_load_dwordx2 v[10:11], v2, s[2:3]
	v_mov_b32_e32 v5, v8
	v_mov_b32_e32 v6, v9
	s_waitcnt vmcnt(1)
	v_and_b32_e32 v3, v3, v5
	s_waitcnt vmcnt(0)
	v_mad_u64_u32 v[7:8], s[14:15], v3, 24, v[10:11]
	v_and_b32_e32 v4, v4, v6
	v_mov_b32_e32 v3, v8
	v_mad_u64_u32 v[3:4], s[14:15], v4, 24, v[3:4]
	v_mov_b32_e32 v8, v3
	global_load_dwordx2 v[3:4], v[7:8], off glc
	s_waitcnt vmcnt(0)
	global_atomic_cmpswap_x2 v[8:9], v2, v[3:6], s[2:3] offset:24 glc
	s_waitcnt vmcnt(0)
	buffer_wbinvl1_vol
	v_cmp_eq_u64_e32 vcc, v[8:9], v[5:6]
	s_or_b64 s[12:13], vcc, s[12:13]
	s_andn2_b64 exec, exec, s[12:13]
	s_cbranch_execnz .LBB0_216
; %bb.217:
	s_or_b64 exec, exec, s[12:13]
.LBB0_218:
	s_or_b64 exec, exec, s[10:11]
.LBB0_219:
	s_or_b64 exec, exec, s[4:5]
	v_mov_b32_e32 v3, 0
	global_load_dwordx2 v[10:11], v3, s[2:3] offset:40
	global_load_dwordx4 v[4:7], v3, s[2:3]
	v_readfirstlane_b32 s5, v9
	v_readfirstlane_b32 s4, v8
	s_mov_b64 s[10:11], exec
	s_waitcnt vmcnt(1)
	v_readfirstlane_b32 s12, v10
	v_readfirstlane_b32 s13, v11
	s_and_b64 s[12:13], s[12:13], s[4:5]
	s_mul_i32 s14, s13, 24
	s_mul_hi_u32 s15, s12, 24
	s_mul_i32 s16, s12, 24
	s_add_i32 s14, s15, s14
	v_mov_b32_e32 v2, s14
	s_waitcnt vmcnt(0)
	v_add_co_u32_e32 v8, vcc, s16, v4
	v_addc_co_u32_e32 v9, vcc, v5, v2, vcc
	s_and_saveexec_b64 s[14:15], s[0:1]
	s_cbranch_execz .LBB0_221
; %bb.220:
	v_mov_b32_e32 v10, s10
	v_mov_b32_e32 v11, s11
	;; [unrolled: 1-line block ×4, first 2 shown]
	global_store_dwordx4 v[8:9], v[10:13], off offset:8
.LBB0_221:
	s_or_b64 exec, exec, s[14:15]
	s_lshl_b64 s[10:11], s[12:13], 12
	v_mov_b32_e32 v2, s11
	v_add_co_u32_e32 v6, vcc, s10, v6
	v_addc_co_u32_e32 v7, vcc, v7, v2, vcc
	s_movk_i32 s10, 0xff1d
	s_mov_b32 s12, 0
	v_and_or_b32 v0, v0, s10, 34
	v_mov_b32_e32 v2, s24
	v_readfirstlane_b32 s10, v6
	v_readfirstlane_b32 s11, v7
	s_mov_b32 s13, s12
	s_mov_b32 s14, s12
	s_mov_b32 s15, s12
	s_nop 1
	global_store_dwordx4 v32, v[0:3], s[10:11]
	s_nop 0
	v_mov_b32_e32 v0, s12
	v_mov_b32_e32 v1, s13
	;; [unrolled: 1-line block ×4, first 2 shown]
	global_store_dwordx4 v32, v[0:3], s[10:11] offset:16
	global_store_dwordx4 v32, v[0:3], s[10:11] offset:32
	;; [unrolled: 1-line block ×3, first 2 shown]
	s_and_saveexec_b64 s[10:11], s[0:1]
	s_cbranch_execz .LBB0_229
; %bb.222:
	v_mov_b32_e32 v6, 0
	global_load_dwordx2 v[12:13], v6, s[2:3] offset:32 glc
	global_load_dwordx2 v[0:1], v6, s[2:3] offset:40
	v_mov_b32_e32 v10, s4
	v_mov_b32_e32 v11, s5
	s_waitcnt vmcnt(0)
	v_readfirstlane_b32 s12, v0
	v_readfirstlane_b32 s13, v1
	s_and_b64 s[12:13], s[12:13], s[4:5]
	s_mul_i32 s13, s13, 24
	s_mul_hi_u32 s14, s12, 24
	s_mul_i32 s12, s12, 24
	s_add_i32 s13, s14, s13
	v_mov_b32_e32 v0, s13
	v_add_co_u32_e32 v4, vcc, s12, v4
	v_addc_co_u32_e32 v5, vcc, v5, v0, vcc
	global_store_dwordx2 v[4:5], v[12:13], off
	s_waitcnt vmcnt(0)
	global_atomic_cmpswap_x2 v[2:3], v6, v[10:13], s[2:3] offset:32 glc
	s_waitcnt vmcnt(0)
	v_cmp_ne_u64_e32 vcc, v[2:3], v[12:13]
	s_and_saveexec_b64 s[12:13], vcc
	s_cbranch_execz .LBB0_225
; %bb.223:
	s_mov_b64 s[14:15], 0
.LBB0_224:                              ; =>This Inner Loop Header: Depth=1
	s_sleep 1
	global_store_dwordx2 v[4:5], v[2:3], off
	v_mov_b32_e32 v0, s4
	v_mov_b32_e32 v1, s5
	s_waitcnt vmcnt(0)
	global_atomic_cmpswap_x2 v[0:1], v6, v[0:3], s[2:3] offset:32 glc
	s_waitcnt vmcnt(0)
	v_cmp_eq_u64_e32 vcc, v[0:1], v[2:3]
	v_mov_b32_e32 v3, v1
	s_or_b64 s[14:15], vcc, s[14:15]
	v_mov_b32_e32 v2, v0
	s_andn2_b64 exec, exec, s[14:15]
	s_cbranch_execnz .LBB0_224
.LBB0_225:
	s_or_b64 exec, exec, s[12:13]
	v_mov_b32_e32 v3, 0
	global_load_dwordx2 v[0:1], v3, s[2:3] offset:16
	s_mov_b64 s[12:13], exec
	v_mbcnt_lo_u32_b32 v2, s12, 0
	v_mbcnt_hi_u32_b32 v2, s13, v2
	v_cmp_eq_u32_e32 vcc, 0, v2
	s_and_saveexec_b64 s[14:15], vcc
	s_cbranch_execz .LBB0_227
; %bb.226:
	s_bcnt1_i32_b64 s12, s[12:13]
	v_mov_b32_e32 v2, s12
	s_waitcnt vmcnt(0)
	global_atomic_add_x2 v[0:1], v[2:3], off offset:8
.LBB0_227:
	s_or_b64 exec, exec, s[14:15]
	s_waitcnt vmcnt(0)
	global_load_dwordx2 v[2:3], v[0:1], off offset:16
	s_waitcnt vmcnt(0)
	v_cmp_eq_u64_e32 vcc, 0, v[2:3]
	s_cbranch_vccnz .LBB0_229
; %bb.228:
	global_load_dword v0, v[0:1], off offset:24
	v_mov_b32_e32 v1, 0
	s_waitcnt vmcnt(0)
	v_readfirstlane_b32 s12, v0
	s_and_b32 m0, s12, 0xffffff
	global_store_dwordx2 v[2:3], v[0:1], off
	s_sendmsg sendmsg(MSG_INTERRUPT)
.LBB0_229:
	s_or_b64 exec, exec, s[10:11]
	s_branch .LBB0_233
.LBB0_230:                              ;   in Loop: Header=BB0_233 Depth=1
	s_or_b64 exec, exec, s[10:11]
	v_readfirstlane_b32 s10, v0
	s_cmp_eq_u32 s10, 0
	s_cbranch_scc1 .LBB0_232
; %bb.231:                              ;   in Loop: Header=BB0_233 Depth=1
	s_sleep 1
	s_cbranch_execnz .LBB0_233
	s_branch .LBB0_235
.LBB0_232:
	s_branch .LBB0_235
.LBB0_233:                              ; =>This Inner Loop Header: Depth=1
	v_mov_b32_e32 v0, 1
	s_and_saveexec_b64 s[10:11], s[0:1]
	s_cbranch_execz .LBB0_230
; %bb.234:                              ;   in Loop: Header=BB0_233 Depth=1
	global_load_dword v0, v[8:9], off offset:20 glc
	s_waitcnt vmcnt(0)
	buffer_wbinvl1_vol
	v_and_b32_e32 v0, 1, v0
	s_branch .LBB0_230
.LBB0_235:
	s_and_saveexec_b64 s[10:11], s[0:1]
	s_cbranch_execz .LBB0_238
; %bb.236:
	v_mov_b32_e32 v6, 0
	global_load_dwordx2 v[0:1], v6, s[2:3] offset:40
	global_load_dwordx2 v[9:10], v6, s[2:3] offset:24 glc
	global_load_dwordx2 v[2:3], v6, s[2:3]
	s_waitcnt vmcnt(2)
	v_readfirstlane_b32 s12, v0
	v_readfirstlane_b32 s13, v1
	s_add_u32 s14, s12, 1
	s_addc_u32 s15, s13, 0
	s_add_u32 s0, s14, s4
	s_addc_u32 s1, s15, s5
	s_cmp_eq_u64 s[0:1], 0
	s_cselect_b32 s1, s15, s1
	s_cselect_b32 s0, s14, s0
	s_and_b64 s[4:5], s[0:1], s[12:13]
	s_mul_i32 s5, s5, 24
	s_mul_hi_u32 s12, s4, 24
	s_mul_i32 s4, s4, 24
	s_add_i32 s5, s12, s5
	v_mov_b32_e32 v0, s5
	s_waitcnt vmcnt(0)
	v_add_co_u32_e32 v4, vcc, s4, v2
	v_addc_co_u32_e32 v5, vcc, v3, v0, vcc
	v_mov_b32_e32 v7, s0
	global_store_dwordx2 v[4:5], v[9:10], off
	v_mov_b32_e32 v8, s1
	s_waitcnt vmcnt(0)
	global_atomic_cmpswap_x2 v[2:3], v6, v[7:10], s[2:3] offset:24 glc
	s_mov_b64 s[4:5], 0
	s_waitcnt vmcnt(0)
	v_cmp_ne_u64_e32 vcc, v[2:3], v[9:10]
	s_and_b64 exec, exec, vcc
	s_cbranch_execz .LBB0_238
.LBB0_237:                              ; =>This Inner Loop Header: Depth=1
	s_sleep 1
	global_store_dwordx2 v[4:5], v[2:3], off
	v_mov_b32_e32 v0, s0
	v_mov_b32_e32 v1, s1
	s_waitcnt vmcnt(0)
	global_atomic_cmpswap_x2 v[0:1], v6, v[0:3], s[2:3] offset:24 glc
	s_waitcnt vmcnt(0)
	v_cmp_eq_u64_e32 vcc, v[0:1], v[2:3]
	v_mov_b32_e32 v3, v1
	s_or_b64 s[4:5], vcc, s[4:5]
	v_mov_b32_e32 v2, v0
	s_andn2_b64 exec, exec, s[4:5]
	s_cbranch_execnz .LBB0_237
.LBB0_238:
	s_or_b64 exec, exec, s[10:11]
	v_mov_b32_e32 v0, s8
	v_mov_b32_e32 v1, s9
	flat_load_dword v0, v[0:1] glc
	s_waitcnt vmcnt(0)
	v_mov_b32_e32 v3, 0
	global_load_dword v2, v3, s[6:7]
	s_waitcnt lgkmcnt(0)
	v_cmp_ne_u32_e32 vcc, s23, v0
	s_and_saveexec_b64 s[0:1], vcc
	s_cbranch_execz .LBB0_242
; %bb.239:
	v_mov_b32_e32 v0, s8
	s_mov_b64 s[4:5], 0
	v_mov_b32_e32 v1, s9
.LBB0_240:                              ; =>This Inner Loop Header: Depth=1
	s_waitcnt vmcnt(0)
	v_add_u32_e32 v2, 1, v2
	global_store_dword v3, v2, s[6:7]
	flat_load_dword v4, v[0:1] glc
	s_waitcnt vmcnt(0) lgkmcnt(0)
	v_cmp_eq_u32_e32 vcc, s23, v4
	s_or_b64 s[4:5], vcc, s[4:5]
	s_andn2_b64 exec, exec, s[4:5]
	s_cbranch_execnz .LBB0_240
; %bb.241:
	s_or_b64 exec, exec, s[4:5]
.LBB0_242:
	s_or_b64 exec, exec, s[0:1]
	v_mov_b32_e32 v0, s8
	v_mov_b32_e32 v1, s9
	flat_load_dword v5, v[0:1] glc
	s_waitcnt vmcnt(0)
	v_readfirstlane_b32 s0, v33
	v_mov_b32_e32 v0, 0
	v_mov_b32_e32 v1, 0
	v_cmp_eq_u32_e64 s[0:1], s0, v33
	s_and_saveexec_b64 s[4:5], s[0:1]
	s_cbranch_execz .LBB0_248
; %bb.243:
	v_mov_b32_e32 v3, 0
	global_load_dwordx2 v[8:9], v3, s[2:3] offset:24 glc
	s_waitcnt vmcnt(0)
	buffer_wbinvl1_vol
	global_load_dwordx2 v[0:1], v3, s[2:3] offset:40
	global_load_dwordx2 v[6:7], v3, s[2:3]
	s_waitcnt vmcnt(0)
	v_and_b32_e32 v0, v0, v8
	v_and_b32_e32 v1, v1, v9
	v_mul_lo_u32 v1, v1, 24
	v_mul_hi_u32 v4, v0, 24
	v_mul_lo_u32 v0, v0, 24
	v_add_u32_e32 v1, v4, v1
	v_add_co_u32_e32 v0, vcc, v6, v0
	v_addc_co_u32_e32 v1, vcc, v7, v1, vcc
	global_load_dwordx2 v[6:7], v[0:1], off glc
	s_waitcnt vmcnt(0)
	global_atomic_cmpswap_x2 v[0:1], v3, v[6:9], s[2:3] offset:24 glc
	s_waitcnt vmcnt(0)
	buffer_wbinvl1_vol
	v_cmp_ne_u64_e32 vcc, v[0:1], v[8:9]
	s_and_saveexec_b64 s[10:11], vcc
	s_cbranch_execz .LBB0_247
; %bb.244:
	s_mov_b64 s[12:13], 0
.LBB0_245:                              ; =>This Inner Loop Header: Depth=1
	s_sleep 1
	global_load_dwordx2 v[6:7], v3, s[2:3] offset:40
	global_load_dwordx2 v[10:11], v3, s[2:3]
	v_mov_b32_e32 v9, v1
	v_mov_b32_e32 v8, v0
	s_waitcnt vmcnt(0)
	v_and_b32_e32 v0, v6, v8
	v_mad_u64_u32 v[0:1], s[14:15], v0, 24, v[10:11]
	v_and_b32_e32 v4, v7, v9
	v_mad_u64_u32 v[6:7], s[14:15], v4, 24, v[1:2]
	v_mov_b32_e32 v1, v6
	global_load_dwordx2 v[6:7], v[0:1], off glc
	s_waitcnt vmcnt(0)
	global_atomic_cmpswap_x2 v[0:1], v3, v[6:9], s[2:3] offset:24 glc
	s_waitcnt vmcnt(0)
	buffer_wbinvl1_vol
	v_cmp_eq_u64_e32 vcc, v[0:1], v[8:9]
	s_or_b64 s[12:13], vcc, s[12:13]
	s_andn2_b64 exec, exec, s[12:13]
	s_cbranch_execnz .LBB0_245
; %bb.246:
	s_or_b64 exec, exec, s[12:13]
.LBB0_247:
	s_or_b64 exec, exec, s[10:11]
.LBB0_248:
	s_or_b64 exec, exec, s[4:5]
	v_mov_b32_e32 v10, 0
	global_load_dwordx2 v[3:4], v10, s[2:3] offset:40
	global_load_dwordx4 v[6:9], v10, s[2:3]
	v_readfirstlane_b32 s5, v1
	v_readfirstlane_b32 s4, v0
	s_mov_b64 s[10:11], exec
	s_waitcnt vmcnt(0)
	v_readfirstlane_b32 s12, v3
	v_readfirstlane_b32 s13, v4
	s_and_b64 s[12:13], s[12:13], s[4:5]
	s_mul_i32 s14, s13, 24
	s_mul_hi_u32 s15, s12, 24
	s_mul_i32 s16, s12, 24
	s_add_i32 s14, s15, s14
	v_mov_b32_e32 v1, s14
	v_add_co_u32_e32 v0, vcc, s16, v6
	v_addc_co_u32_e32 v1, vcc, v7, v1, vcc
	s_and_saveexec_b64 s[14:15], s[0:1]
	s_cbranch_execz .LBB0_250
; %bb.249:
	v_mov_b32_e32 v12, s11
	v_mov_b32_e32 v11, s10
	;; [unrolled: 1-line block ×4, first 2 shown]
	global_store_dwordx4 v[0:1], v[11:14], off offset:8
.LBB0_250:
	s_or_b64 exec, exec, s[14:15]
	s_lshl_b64 s[10:11], s[12:13], 12
	v_mov_b32_e32 v3, s11
	v_add_co_u32_e32 v8, vcc, s10, v8
	v_addc_co_u32_e32 v13, vcc, v9, v3, vcc
	s_mov_b32 s12, 0
	v_mov_b32_e32 v9, 33
	v_mov_b32_e32 v11, v10
	;; [unrolled: 1-line block ×3, first 2 shown]
	v_readfirstlane_b32 s10, v8
	v_readfirstlane_b32 s11, v13
	v_add_co_u32_e32 v3, vcc, v8, v32
	s_mov_b32 s13, s12
	s_mov_b32 s14, s12
	;; [unrolled: 1-line block ×3, first 2 shown]
	s_nop 0
	global_store_dwordx4 v32, v[9:12], s[10:11]
	v_mov_b32_e32 v8, s12
	v_addc_co_u32_e32 v4, vcc, 0, v13, vcc
	v_mov_b32_e32 v9, s13
	v_mov_b32_e32 v10, s14
	;; [unrolled: 1-line block ×3, first 2 shown]
	global_store_dwordx4 v32, v[8:11], s[10:11] offset:16
	global_store_dwordx4 v32, v[8:11], s[10:11] offset:32
	;; [unrolled: 1-line block ×3, first 2 shown]
	s_and_saveexec_b64 s[10:11], s[0:1]
	s_cbranch_execz .LBB0_258
; %bb.251:
	v_mov_b32_e32 v12, 0
	global_load_dwordx2 v[15:16], v12, s[2:3] offset:32 glc
	global_load_dwordx2 v[8:9], v12, s[2:3] offset:40
	v_mov_b32_e32 v13, s4
	v_mov_b32_e32 v14, s5
	s_waitcnt vmcnt(0)
	v_readfirstlane_b32 s12, v8
	v_readfirstlane_b32 s13, v9
	s_and_b64 s[12:13], s[12:13], s[4:5]
	s_mul_i32 s13, s13, 24
	s_mul_hi_u32 s14, s12, 24
	s_mul_i32 s12, s12, 24
	s_add_i32 s13, s14, s13
	v_mov_b32_e32 v8, s13
	v_add_co_u32_e32 v10, vcc, s12, v6
	v_addc_co_u32_e32 v11, vcc, v7, v8, vcc
	global_store_dwordx2 v[10:11], v[15:16], off
	s_waitcnt vmcnt(0)
	global_atomic_cmpswap_x2 v[8:9], v12, v[13:16], s[2:3] offset:32 glc
	s_waitcnt vmcnt(0)
	v_cmp_ne_u64_e32 vcc, v[8:9], v[15:16]
	s_and_saveexec_b64 s[12:13], vcc
	s_cbranch_execz .LBB0_254
; %bb.252:
	s_mov_b64 s[14:15], 0
.LBB0_253:                              ; =>This Inner Loop Header: Depth=1
	s_sleep 1
	global_store_dwordx2 v[10:11], v[8:9], off
	v_mov_b32_e32 v6, s4
	v_mov_b32_e32 v7, s5
	s_waitcnt vmcnt(0)
	global_atomic_cmpswap_x2 v[6:7], v12, v[6:9], s[2:3] offset:32 glc
	s_waitcnt vmcnt(0)
	v_cmp_eq_u64_e32 vcc, v[6:7], v[8:9]
	v_mov_b32_e32 v9, v7
	s_or_b64 s[14:15], vcc, s[14:15]
	v_mov_b32_e32 v8, v6
	s_andn2_b64 exec, exec, s[14:15]
	s_cbranch_execnz .LBB0_253
.LBB0_254:
	s_or_b64 exec, exec, s[12:13]
	v_mov_b32_e32 v9, 0
	global_load_dwordx2 v[6:7], v9, s[2:3] offset:16
	s_mov_b64 s[12:13], exec
	v_mbcnt_lo_u32_b32 v8, s12, 0
	v_mbcnt_hi_u32_b32 v8, s13, v8
	v_cmp_eq_u32_e32 vcc, 0, v8
	s_and_saveexec_b64 s[14:15], vcc
	s_cbranch_execz .LBB0_256
; %bb.255:
	s_bcnt1_i32_b64 s12, s[12:13]
	v_mov_b32_e32 v8, s12
	s_waitcnt vmcnt(0)
	global_atomic_add_x2 v[6:7], v[8:9], off offset:8
.LBB0_256:
	s_or_b64 exec, exec, s[14:15]
	s_waitcnt vmcnt(0)
	global_load_dwordx2 v[8:9], v[6:7], off offset:16
	s_waitcnt vmcnt(0)
	v_cmp_eq_u64_e32 vcc, 0, v[8:9]
	s_cbranch_vccnz .LBB0_258
; %bb.257:
	global_load_dword v6, v[6:7], off offset:24
	v_mov_b32_e32 v7, 0
	s_waitcnt vmcnt(0)
	v_readfirstlane_b32 s12, v6
	s_and_b32 m0, s12, 0xffffff
	global_store_dwordx2 v[8:9], v[6:7], off
	s_sendmsg sendmsg(MSG_INTERRUPT)
.LBB0_258:
	s_or_b64 exec, exec, s[10:11]
	s_branch .LBB0_262
.LBB0_259:                              ;   in Loop: Header=BB0_262 Depth=1
	s_or_b64 exec, exec, s[10:11]
	v_readfirstlane_b32 s10, v6
	s_cmp_eq_u32 s10, 0
	s_cbranch_scc1 .LBB0_261
; %bb.260:                              ;   in Loop: Header=BB0_262 Depth=1
	s_sleep 1
	s_cbranch_execnz .LBB0_262
	s_branch .LBB0_264
.LBB0_261:
	s_branch .LBB0_264
.LBB0_262:                              ; =>This Inner Loop Header: Depth=1
	v_mov_b32_e32 v6, 1
	s_and_saveexec_b64 s[10:11], s[0:1]
	s_cbranch_execz .LBB0_259
; %bb.263:                              ;   in Loop: Header=BB0_262 Depth=1
	global_load_dword v6, v[0:1], off offset:20 glc
	s_waitcnt vmcnt(0)
	buffer_wbinvl1_vol
	v_and_b32_e32 v6, 1, v6
	s_branch .LBB0_259
.LBB0_264:
	global_load_dwordx2 v[6:7], v[3:4], off
	s_and_saveexec_b64 s[10:11], s[0:1]
	s_cbranch_execz .LBB0_267
; %bb.265:
	v_mov_b32_e32 v3, 0
	global_load_dwordx2 v[0:1], v3, s[2:3] offset:40
	global_load_dwordx2 v[12:13], v3, s[2:3] offset:24 glc
	global_load_dwordx2 v[8:9], v3, s[2:3]
	s_waitcnt vmcnt(0)
	v_readfirstlane_b32 s12, v0
	v_readfirstlane_b32 s13, v1
	s_add_u32 s14, s12, 1
	s_addc_u32 s15, s13, 0
	s_add_u32 s0, s14, s4
	s_addc_u32 s1, s15, s5
	s_cmp_eq_u64 s[0:1], 0
	s_cselect_b32 s1, s15, s1
	s_cselect_b32 s0, s14, s0
	s_and_b64 s[4:5], s[0:1], s[12:13]
	s_mul_i32 s5, s5, 24
	s_mul_hi_u32 s12, s4, 24
	s_mul_i32 s4, s4, 24
	s_add_i32 s5, s12, s5
	v_mov_b32_e32 v1, s5
	v_add_co_u32_e32 v0, vcc, s4, v8
	v_addc_co_u32_e32 v1, vcc, v9, v1, vcc
	v_mov_b32_e32 v10, s0
	global_store_dwordx2 v[0:1], v[12:13], off
	v_mov_b32_e32 v11, s1
	s_waitcnt vmcnt(0)
	global_atomic_cmpswap_x2 v[10:11], v3, v[10:13], s[2:3] offset:24 glc
	s_mov_b64 s[4:5], 0
	s_waitcnt vmcnt(0)
	v_cmp_ne_u64_e32 vcc, v[10:11], v[12:13]
	s_and_b64 exec, exec, vcc
	s_cbranch_execz .LBB0_267
.LBB0_266:                              ; =>This Inner Loop Header: Depth=1
	s_sleep 1
	global_store_dwordx2 v[0:1], v[10:11], off
	v_mov_b32_e32 v8, s0
	v_mov_b32_e32 v9, s1
	s_waitcnt vmcnt(0)
	global_atomic_cmpswap_x2 v[8:9], v3, v[8:11], s[2:3] offset:24 glc
	s_waitcnt vmcnt(0)
	v_cmp_eq_u64_e32 vcc, v[8:9], v[10:11]
	v_mov_b32_e32 v11, v9
	s_or_b64 s[4:5], vcc, s[4:5]
	v_mov_b32_e32 v10, v8
	s_andn2_b64 exec, exec, s[4:5]
	s_cbranch_execnz .LBB0_266
.LBB0_267:
	s_or_b64 exec, exec, s[10:11]
	s_getpc_b64 s[4:5]
	s_add_u32 s4, s4, .str.1@rel32@lo+4
	s_addc_u32 s5, s5, .str.1@rel32@hi+12
	s_cmp_lg_u64 s[4:5], 0
	s_cbranch_scc0 .LBB0_353
; %bb.268:
	s_waitcnt vmcnt(0)
	v_and_b32_e32 v34, 2, v6
	v_mov_b32_e32 v1, 0
	v_and_b32_e32 v8, -3, v6
	v_mov_b32_e32 v9, v7
	s_mov_b64 s[10:11], 41
	v_mov_b32_e32 v14, 2
	v_mov_b32_e32 v15, 1
	s_branch .LBB0_270
.LBB0_269:                              ;   in Loop: Header=BB0_270 Depth=1
	s_or_b64 exec, exec, s[16:17]
	s_sub_u32 s10, s10, s12
	s_subb_u32 s11, s11, s13
	s_add_u32 s4, s4, s12
	s_addc_u32 s5, s5, s13
	s_cmp_lg_u64 s[10:11], 0
	s_cbranch_scc0 .LBB0_352
.LBB0_270:                              ; =>This Loop Header: Depth=1
                                        ;     Child Loop BB0_273 Depth 2
                                        ;     Child Loop BB0_281 Depth 2
	;; [unrolled: 1-line block ×11, first 2 shown]
	v_cmp_lt_u64_e64 s[0:1], s[10:11], 56
	v_cmp_gt_u64_e64 s[14:15], s[10:11], 7
	s_and_b64 s[0:1], s[0:1], exec
	s_cselect_b32 s13, s11, 0
	s_cselect_b32 s12, s10, 56
	s_add_u32 s0, s4, 8
	s_addc_u32 s1, s5, 0
	s_and_b64 vcc, exec, s[14:15]
	s_cbranch_vccnz .LBB0_274
; %bb.271:                              ;   in Loop: Header=BB0_270 Depth=1
	s_cmp_eq_u64 s[10:11], 0
	s_cbranch_scc1 .LBB0_275
; %bb.272:                              ;   in Loop: Header=BB0_270 Depth=1
	v_mov_b32_e32 v10, 0
	s_lshl_b64 s[0:1], s[12:13], 3
	s_mov_b64 s[14:15], 0
	v_mov_b32_e32 v11, 0
	s_mov_b64 s[16:17], s[4:5]
.LBB0_273:                              ;   Parent Loop BB0_270 Depth=1
                                        ; =>  This Inner Loop Header: Depth=2
	global_load_ubyte v0, v1, s[16:17]
	s_waitcnt vmcnt(0)
	v_and_b32_e32 v0, 0xffff, v0
	v_lshlrev_b64 v[3:4], s14, v[0:1]
	s_add_u32 s14, s14, 8
	s_addc_u32 s15, s15, 0
	s_add_u32 s16, s16, 1
	s_addc_u32 s17, s17, 0
	v_or_b32_e32 v10, v3, v10
	s_cmp_lg_u32 s0, s14
	v_or_b32_e32 v11, v4, v11
	s_cbranch_scc1 .LBB0_273
	s_branch .LBB0_276
.LBB0_274:                              ;   in Loop: Header=BB0_270 Depth=1
	s_mov_b32 s18, 0
	s_branch .LBB0_277
.LBB0_275:                              ;   in Loop: Header=BB0_270 Depth=1
	v_mov_b32_e32 v10, 0
	v_mov_b32_e32 v11, 0
.LBB0_276:                              ;   in Loop: Header=BB0_270 Depth=1
	s_mov_b64 s[0:1], s[4:5]
	s_mov_b32 s18, 0
	s_cbranch_execnz .LBB0_278
.LBB0_277:                              ;   in Loop: Header=BB0_270 Depth=1
	global_load_dwordx2 v[10:11], v1, s[4:5]
	s_add_i32 s18, s12, -8
.LBB0_278:                              ;   in Loop: Header=BB0_270 Depth=1
	s_add_u32 s14, s0, 8
	s_addc_u32 s15, s1, 0
	s_cmp_gt_u32 s18, 7
	s_cbranch_scc1 .LBB0_282
; %bb.279:                              ;   in Loop: Header=BB0_270 Depth=1
	s_cmp_eq_u32 s18, 0
	s_cbranch_scc1 .LBB0_283
; %bb.280:                              ;   in Loop: Header=BB0_270 Depth=1
	v_mov_b32_e32 v16, 0
	s_mov_b64 s[14:15], 0
	v_mov_b32_e32 v17, 0
	s_mov_b64 s[16:17], 0
.LBB0_281:                              ;   Parent Loop BB0_270 Depth=1
                                        ; =>  This Inner Loop Header: Depth=2
	s_add_u32 s20, s0, s16
	s_addc_u32 s21, s1, s17
	global_load_ubyte v0, v1, s[20:21]
	s_add_u32 s16, s16, 1
	s_addc_u32 s17, s17, 0
	s_waitcnt vmcnt(0)
	v_and_b32_e32 v0, 0xffff, v0
	v_lshlrev_b64 v[3:4], s14, v[0:1]
	s_add_u32 s14, s14, 8
	s_addc_u32 s15, s15, 0
	v_or_b32_e32 v16, v3, v16
	s_cmp_lg_u32 s18, s16
	v_or_b32_e32 v17, v4, v17
	s_cbranch_scc1 .LBB0_281
	s_branch .LBB0_284
.LBB0_282:                              ;   in Loop: Header=BB0_270 Depth=1
                                        ; implicit-def: $vgpr16_vgpr17
	s_mov_b32 s19, 0
	s_branch .LBB0_285
.LBB0_283:                              ;   in Loop: Header=BB0_270 Depth=1
	v_mov_b32_e32 v16, 0
	v_mov_b32_e32 v17, 0
.LBB0_284:                              ;   in Loop: Header=BB0_270 Depth=1
	s_mov_b64 s[14:15], s[0:1]
	s_mov_b32 s19, 0
	s_cbranch_execnz .LBB0_286
.LBB0_285:                              ;   in Loop: Header=BB0_270 Depth=1
	global_load_dwordx2 v[16:17], v1, s[0:1]
	s_add_i32 s19, s18, -8
.LBB0_286:                              ;   in Loop: Header=BB0_270 Depth=1
	s_add_u32 s0, s14, 8
	s_addc_u32 s1, s15, 0
	s_cmp_gt_u32 s19, 7
	s_cbranch_scc1 .LBB0_290
; %bb.287:                              ;   in Loop: Header=BB0_270 Depth=1
	s_cmp_eq_u32 s19, 0
	s_cbranch_scc1 .LBB0_291
; %bb.288:                              ;   in Loop: Header=BB0_270 Depth=1
	v_mov_b32_e32 v18, 0
	s_mov_b64 s[0:1], 0
	v_mov_b32_e32 v19, 0
	s_mov_b64 s[16:17], 0
.LBB0_289:                              ;   Parent Loop BB0_270 Depth=1
                                        ; =>  This Inner Loop Header: Depth=2
	s_add_u32 s20, s14, s16
	s_addc_u32 s21, s15, s17
	global_load_ubyte v0, v1, s[20:21]
	s_add_u32 s16, s16, 1
	s_addc_u32 s17, s17, 0
	s_waitcnt vmcnt(0)
	v_and_b32_e32 v0, 0xffff, v0
	v_lshlrev_b64 v[3:4], s0, v[0:1]
	s_add_u32 s0, s0, 8
	s_addc_u32 s1, s1, 0
	v_or_b32_e32 v18, v3, v18
	s_cmp_lg_u32 s19, s16
	v_or_b32_e32 v19, v4, v19
	s_cbranch_scc1 .LBB0_289
	s_branch .LBB0_292
.LBB0_290:                              ;   in Loop: Header=BB0_270 Depth=1
	s_mov_b32 s18, 0
	s_branch .LBB0_293
.LBB0_291:                              ;   in Loop: Header=BB0_270 Depth=1
	v_mov_b32_e32 v18, 0
	v_mov_b32_e32 v19, 0
.LBB0_292:                              ;   in Loop: Header=BB0_270 Depth=1
	s_mov_b64 s[0:1], s[14:15]
	s_mov_b32 s18, 0
	s_cbranch_execnz .LBB0_294
.LBB0_293:                              ;   in Loop: Header=BB0_270 Depth=1
	global_load_dwordx2 v[18:19], v1, s[14:15]
	s_add_i32 s18, s19, -8
.LBB0_294:                              ;   in Loop: Header=BB0_270 Depth=1
	s_add_u32 s14, s0, 8
	s_addc_u32 s15, s1, 0
	s_cmp_gt_u32 s18, 7
	s_cbranch_scc1 .LBB0_298
; %bb.295:                              ;   in Loop: Header=BB0_270 Depth=1
	s_cmp_eq_u32 s18, 0
	s_cbranch_scc1 .LBB0_299
; %bb.296:                              ;   in Loop: Header=BB0_270 Depth=1
	v_mov_b32_e32 v20, 0
	s_mov_b64 s[14:15], 0
	v_mov_b32_e32 v21, 0
	s_mov_b64 s[16:17], 0
.LBB0_297:                              ;   Parent Loop BB0_270 Depth=1
                                        ; =>  This Inner Loop Header: Depth=2
	s_add_u32 s20, s0, s16
	s_addc_u32 s21, s1, s17
	global_load_ubyte v0, v1, s[20:21]
	s_add_u32 s16, s16, 1
	s_addc_u32 s17, s17, 0
	s_waitcnt vmcnt(0)
	v_and_b32_e32 v0, 0xffff, v0
	v_lshlrev_b64 v[3:4], s14, v[0:1]
	s_add_u32 s14, s14, 8
	s_addc_u32 s15, s15, 0
	v_or_b32_e32 v20, v3, v20
	s_cmp_lg_u32 s18, s16
	v_or_b32_e32 v21, v4, v21
	s_cbranch_scc1 .LBB0_297
	s_branch .LBB0_300
.LBB0_298:                              ;   in Loop: Header=BB0_270 Depth=1
                                        ; implicit-def: $vgpr20_vgpr21
	s_mov_b32 s19, 0
	s_branch .LBB0_301
.LBB0_299:                              ;   in Loop: Header=BB0_270 Depth=1
	v_mov_b32_e32 v20, 0
	v_mov_b32_e32 v21, 0
.LBB0_300:                              ;   in Loop: Header=BB0_270 Depth=1
	s_mov_b64 s[14:15], s[0:1]
	s_mov_b32 s19, 0
	s_cbranch_execnz .LBB0_302
.LBB0_301:                              ;   in Loop: Header=BB0_270 Depth=1
	global_load_dwordx2 v[20:21], v1, s[0:1]
	s_add_i32 s19, s18, -8
.LBB0_302:                              ;   in Loop: Header=BB0_270 Depth=1
	s_add_u32 s0, s14, 8
	s_addc_u32 s1, s15, 0
	s_cmp_gt_u32 s19, 7
	s_cbranch_scc1 .LBB0_306
; %bb.303:                              ;   in Loop: Header=BB0_270 Depth=1
	s_cmp_eq_u32 s19, 0
	s_cbranch_scc1 .LBB0_307
; %bb.304:                              ;   in Loop: Header=BB0_270 Depth=1
	v_mov_b32_e32 v22, 0
	s_mov_b64 s[0:1], 0
	v_mov_b32_e32 v23, 0
	s_mov_b64 s[16:17], 0
.LBB0_305:                              ;   Parent Loop BB0_270 Depth=1
                                        ; =>  This Inner Loop Header: Depth=2
	s_add_u32 s20, s14, s16
	s_addc_u32 s21, s15, s17
	global_load_ubyte v0, v1, s[20:21]
	s_add_u32 s16, s16, 1
	s_addc_u32 s17, s17, 0
	s_waitcnt vmcnt(0)
	v_and_b32_e32 v0, 0xffff, v0
	v_lshlrev_b64 v[3:4], s0, v[0:1]
	s_add_u32 s0, s0, 8
	s_addc_u32 s1, s1, 0
	v_or_b32_e32 v22, v3, v22
	s_cmp_lg_u32 s19, s16
	v_or_b32_e32 v23, v4, v23
	s_cbranch_scc1 .LBB0_305
	s_branch .LBB0_308
.LBB0_306:                              ;   in Loop: Header=BB0_270 Depth=1
	s_mov_b32 s18, 0
	s_branch .LBB0_309
.LBB0_307:                              ;   in Loop: Header=BB0_270 Depth=1
	v_mov_b32_e32 v22, 0
	v_mov_b32_e32 v23, 0
.LBB0_308:                              ;   in Loop: Header=BB0_270 Depth=1
	s_mov_b64 s[0:1], s[14:15]
	s_mov_b32 s18, 0
	s_cbranch_execnz .LBB0_310
.LBB0_309:                              ;   in Loop: Header=BB0_270 Depth=1
	global_load_dwordx2 v[22:23], v1, s[14:15]
	s_add_i32 s18, s19, -8
.LBB0_310:                              ;   in Loop: Header=BB0_270 Depth=1
	s_add_u32 s14, s0, 8
	s_addc_u32 s15, s1, 0
	s_cmp_gt_u32 s18, 7
	s_cbranch_scc1 .LBB0_314
; %bb.311:                              ;   in Loop: Header=BB0_270 Depth=1
	s_cmp_eq_u32 s18, 0
	s_cbranch_scc1 .LBB0_315
; %bb.312:                              ;   in Loop: Header=BB0_270 Depth=1
	v_mov_b32_e32 v24, 0
	s_mov_b64 s[14:15], 0
	v_mov_b32_e32 v25, 0
	s_mov_b64 s[16:17], 0
.LBB0_313:                              ;   Parent Loop BB0_270 Depth=1
                                        ; =>  This Inner Loop Header: Depth=2
	s_add_u32 s20, s0, s16
	s_addc_u32 s21, s1, s17
	global_load_ubyte v0, v1, s[20:21]
	s_add_u32 s16, s16, 1
	s_addc_u32 s17, s17, 0
	s_waitcnt vmcnt(0)
	v_and_b32_e32 v0, 0xffff, v0
	v_lshlrev_b64 v[3:4], s14, v[0:1]
	s_add_u32 s14, s14, 8
	s_addc_u32 s15, s15, 0
	v_or_b32_e32 v24, v3, v24
	s_cmp_lg_u32 s18, s16
	v_or_b32_e32 v25, v4, v25
	s_cbranch_scc1 .LBB0_313
	s_branch .LBB0_316
.LBB0_314:                              ;   in Loop: Header=BB0_270 Depth=1
                                        ; implicit-def: $vgpr24_vgpr25
	s_mov_b32 s19, 0
	s_branch .LBB0_317
.LBB0_315:                              ;   in Loop: Header=BB0_270 Depth=1
	v_mov_b32_e32 v24, 0
	v_mov_b32_e32 v25, 0
.LBB0_316:                              ;   in Loop: Header=BB0_270 Depth=1
	s_mov_b64 s[14:15], s[0:1]
	s_mov_b32 s19, 0
	s_cbranch_execnz .LBB0_318
.LBB0_317:                              ;   in Loop: Header=BB0_270 Depth=1
	global_load_dwordx2 v[24:25], v1, s[0:1]
	s_add_i32 s19, s18, -8
.LBB0_318:                              ;   in Loop: Header=BB0_270 Depth=1
	s_cmp_gt_u32 s19, 7
	s_cbranch_scc1 .LBB0_322
; %bb.319:                              ;   in Loop: Header=BB0_270 Depth=1
	s_cmp_eq_u32 s19, 0
	s_cbranch_scc1 .LBB0_323
; %bb.320:                              ;   in Loop: Header=BB0_270 Depth=1
	v_mov_b32_e32 v26, 0
	s_mov_b64 s[0:1], 0
	v_mov_b32_e32 v27, 0
	s_mov_b64 s[16:17], s[14:15]
.LBB0_321:                              ;   Parent Loop BB0_270 Depth=1
                                        ; =>  This Inner Loop Header: Depth=2
	global_load_ubyte v0, v1, s[16:17]
	s_add_i32 s19, s19, -1
	s_waitcnt vmcnt(0)
	v_and_b32_e32 v0, 0xffff, v0
	v_lshlrev_b64 v[3:4], s0, v[0:1]
	s_add_u32 s0, s0, 8
	s_addc_u32 s1, s1, 0
	s_add_u32 s16, s16, 1
	s_addc_u32 s17, s17, 0
	v_or_b32_e32 v26, v3, v26
	s_cmp_lg_u32 s19, 0
	v_or_b32_e32 v27, v4, v27
	s_cbranch_scc1 .LBB0_321
	s_branch .LBB0_324
.LBB0_322:                              ;   in Loop: Header=BB0_270 Depth=1
	s_branch .LBB0_325
.LBB0_323:                              ;   in Loop: Header=BB0_270 Depth=1
	v_mov_b32_e32 v26, 0
	v_mov_b32_e32 v27, 0
.LBB0_324:                              ;   in Loop: Header=BB0_270 Depth=1
	s_cbranch_execnz .LBB0_326
.LBB0_325:                              ;   in Loop: Header=BB0_270 Depth=1
	global_load_dwordx2 v[26:27], v1, s[14:15]
.LBB0_326:                              ;   in Loop: Header=BB0_270 Depth=1
	v_readfirstlane_b32 s0, v33
	v_mov_b32_e32 v3, 0
	v_mov_b32_e32 v4, 0
	v_cmp_eq_u32_e64 s[0:1], s0, v33
	s_and_saveexec_b64 s[14:15], s[0:1]
	s_cbranch_execz .LBB0_332
; %bb.327:                              ;   in Loop: Header=BB0_270 Depth=1
	global_load_dwordx2 v[30:31], v1, s[2:3] offset:24 glc
	s_waitcnt vmcnt(0)
	buffer_wbinvl1_vol
	global_load_dwordx2 v[3:4], v1, s[2:3] offset:40
	global_load_dwordx2 v[12:13], v1, s[2:3]
	s_waitcnt vmcnt(0)
	v_and_b32_e32 v0, v3, v30
	v_and_b32_e32 v3, v4, v31
	v_mul_lo_u32 v3, v3, 24
	v_mul_hi_u32 v4, v0, 24
	v_mul_lo_u32 v0, v0, 24
	v_add_u32_e32 v4, v4, v3
	v_add_co_u32_e32 v3, vcc, v12, v0
	v_addc_co_u32_e32 v4, vcc, v13, v4, vcc
	global_load_dwordx2 v[28:29], v[3:4], off glc
	s_waitcnt vmcnt(0)
	global_atomic_cmpswap_x2 v[3:4], v1, v[28:31], s[2:3] offset:24 glc
	s_waitcnt vmcnt(0)
	buffer_wbinvl1_vol
	v_cmp_ne_u64_e32 vcc, v[3:4], v[30:31]
	s_and_saveexec_b64 s[16:17], vcc
	s_cbranch_execz .LBB0_331
; %bb.328:                              ;   in Loop: Header=BB0_270 Depth=1
	s_mov_b64 s[18:19], 0
.LBB0_329:                              ;   Parent Loop BB0_270 Depth=1
                                        ; =>  This Inner Loop Header: Depth=2
	s_sleep 1
	global_load_dwordx2 v[12:13], v1, s[2:3] offset:40
	global_load_dwordx2 v[28:29], v1, s[2:3]
	v_mov_b32_e32 v31, v4
	v_mov_b32_e32 v30, v3
	s_waitcnt vmcnt(0)
	v_and_b32_e32 v0, v12, v30
	v_mad_u64_u32 v[3:4], s[20:21], v0, 24, v[28:29]
	v_and_b32_e32 v12, v13, v31
	v_mov_b32_e32 v0, v4
	v_mad_u64_u32 v[12:13], s[20:21], v12, 24, v[0:1]
	v_mov_b32_e32 v4, v12
	global_load_dwordx2 v[28:29], v[3:4], off glc
	s_waitcnt vmcnt(0)
	global_atomic_cmpswap_x2 v[3:4], v1, v[28:31], s[2:3] offset:24 glc
	s_waitcnt vmcnt(0)
	buffer_wbinvl1_vol
	v_cmp_eq_u64_e32 vcc, v[3:4], v[30:31]
	s_or_b64 s[18:19], vcc, s[18:19]
	s_andn2_b64 exec, exec, s[18:19]
	s_cbranch_execnz .LBB0_329
; %bb.330:                              ;   in Loop: Header=BB0_270 Depth=1
	s_or_b64 exec, exec, s[18:19]
.LBB0_331:                              ;   in Loop: Header=BB0_270 Depth=1
	s_or_b64 exec, exec, s[16:17]
.LBB0_332:                              ;   in Loop: Header=BB0_270 Depth=1
	s_or_b64 exec, exec, s[14:15]
	global_load_dwordx2 v[12:13], v1, s[2:3] offset:40
	global_load_dwordx4 v[28:31], v1, s[2:3]
	v_readfirstlane_b32 s15, v4
	v_readfirstlane_b32 s14, v3
	s_mov_b64 s[16:17], exec
	s_waitcnt vmcnt(0)
	v_readfirstlane_b32 s18, v12
	v_readfirstlane_b32 s19, v13
	s_and_b64 s[18:19], s[18:19], s[14:15]
	s_mul_i32 s20, s19, 24
	s_mul_hi_u32 s21, s18, 24
	s_mul_i32 s24, s18, 24
	s_add_i32 s20, s21, s20
	v_mov_b32_e32 v0, s20
	v_add_co_u32_e32 v3, vcc, s24, v28
	v_addc_co_u32_e32 v4, vcc, v29, v0, vcc
	s_and_saveexec_b64 s[20:21], s[0:1]
	s_cbranch_execz .LBB0_334
; %bb.333:                              ;   in Loop: Header=BB0_270 Depth=1
	v_mov_b32_e32 v12, s16
	v_mov_b32_e32 v13, s17
	global_store_dwordx4 v[3:4], v[12:15], off offset:8
.LBB0_334:                              ;   in Loop: Header=BB0_270 Depth=1
	s_or_b64 exec, exec, s[20:21]
	s_lshl_b64 s[16:17], s[18:19], 12
	v_mov_b32_e32 v0, s17
	v_add_co_u32_e32 v30, vcc, s16, v30
	v_addc_co_u32_e32 v31, vcc, v31, v0, vcc
	v_cmp_lt_u64_e64 vcc, s[10:11], 57
	s_lshl_b32 s16, s12, 2
	v_cndmask_b32_e32 v0, 0, v34, vcc
	s_add_i32 s16, s16, 28
	v_and_b32_e32 v8, 0xffffff1f, v8
	s_and_b32 s16, s16, 0x1e0
	v_or_b32_e32 v0, v8, v0
	v_or_b32_e32 v8, s16, v0
	v_readfirstlane_b32 s16, v30
	v_readfirstlane_b32 s17, v31
	s_nop 4
	global_store_dwordx4 v32, v[8:11], s[16:17]
	global_store_dwordx4 v32, v[16:19], s[16:17] offset:16
	global_store_dwordx4 v32, v[20:23], s[16:17] offset:32
	;; [unrolled: 1-line block ×3, first 2 shown]
	s_and_saveexec_b64 s[16:17], s[0:1]
	s_cbranch_execz .LBB0_342
; %bb.335:                              ;   in Loop: Header=BB0_270 Depth=1
	global_load_dwordx2 v[18:19], v1, s[2:3] offset:32 glc
	global_load_dwordx2 v[8:9], v1, s[2:3] offset:40
	v_mov_b32_e32 v16, s14
	v_mov_b32_e32 v17, s15
	s_waitcnt vmcnt(0)
	v_readfirstlane_b32 s18, v8
	v_readfirstlane_b32 s19, v9
	s_and_b64 s[18:19], s[18:19], s[14:15]
	s_mul_i32 s19, s19, 24
	s_mul_hi_u32 s20, s18, 24
	s_mul_i32 s18, s18, 24
	s_add_i32 s19, s20, s19
	v_mov_b32_e32 v0, s19
	v_add_co_u32_e32 v12, vcc, s18, v28
	v_addc_co_u32_e32 v13, vcc, v29, v0, vcc
	global_store_dwordx2 v[12:13], v[18:19], off
	s_waitcnt vmcnt(0)
	global_atomic_cmpswap_x2 v[10:11], v1, v[16:19], s[2:3] offset:32 glc
	s_waitcnt vmcnt(0)
	v_cmp_ne_u64_e32 vcc, v[10:11], v[18:19]
	s_and_saveexec_b64 s[18:19], vcc
	s_cbranch_execz .LBB0_338
; %bb.336:                              ;   in Loop: Header=BB0_270 Depth=1
	s_mov_b64 s[20:21], 0
.LBB0_337:                              ;   Parent Loop BB0_270 Depth=1
                                        ; =>  This Inner Loop Header: Depth=2
	s_sleep 1
	global_store_dwordx2 v[12:13], v[10:11], off
	v_mov_b32_e32 v8, s14
	v_mov_b32_e32 v9, s15
	s_waitcnt vmcnt(0)
	global_atomic_cmpswap_x2 v[8:9], v1, v[8:11], s[2:3] offset:32 glc
	s_waitcnt vmcnt(0)
	v_cmp_eq_u64_e32 vcc, v[8:9], v[10:11]
	v_mov_b32_e32 v11, v9
	s_or_b64 s[20:21], vcc, s[20:21]
	v_mov_b32_e32 v10, v8
	s_andn2_b64 exec, exec, s[20:21]
	s_cbranch_execnz .LBB0_337
.LBB0_338:                              ;   in Loop: Header=BB0_270 Depth=1
	s_or_b64 exec, exec, s[18:19]
	global_load_dwordx2 v[8:9], v1, s[2:3] offset:16
	s_mov_b64 s[20:21], exec
	v_mbcnt_lo_u32_b32 v0, s20, 0
	v_mbcnt_hi_u32_b32 v0, s21, v0
	v_cmp_eq_u32_e32 vcc, 0, v0
	s_and_saveexec_b64 s[18:19], vcc
	s_cbranch_execz .LBB0_340
; %bb.339:                              ;   in Loop: Header=BB0_270 Depth=1
	s_bcnt1_i32_b64 s20, s[20:21]
	v_mov_b32_e32 v0, s20
	s_waitcnt vmcnt(0)
	global_atomic_add_x2 v[8:9], v[0:1], off offset:8
.LBB0_340:                              ;   in Loop: Header=BB0_270 Depth=1
	s_or_b64 exec, exec, s[18:19]
	s_waitcnt vmcnt(0)
	global_load_dwordx2 v[10:11], v[8:9], off offset:16
	s_waitcnt vmcnt(0)
	v_cmp_eq_u64_e32 vcc, 0, v[10:11]
	s_cbranch_vccnz .LBB0_342
; %bb.341:                              ;   in Loop: Header=BB0_270 Depth=1
	global_load_dword v0, v[8:9], off offset:24
	s_waitcnt vmcnt(0)
	v_readfirstlane_b32 s18, v0
	s_and_b32 m0, s18, 0xffffff
	global_store_dwordx2 v[10:11], v[0:1], off
	s_sendmsg sendmsg(MSG_INTERRUPT)
.LBB0_342:                              ;   in Loop: Header=BB0_270 Depth=1
	s_or_b64 exec, exec, s[16:17]
	v_add_co_u32_e32 v8, vcc, v30, v32
	v_addc_co_u32_e32 v9, vcc, 0, v31, vcc
	s_branch .LBB0_346
.LBB0_343:                              ;   in Loop: Header=BB0_346 Depth=2
	s_or_b64 exec, exec, s[16:17]
	v_readfirstlane_b32 s16, v0
	s_cmp_eq_u32 s16, 0
	s_cbranch_scc1 .LBB0_345
; %bb.344:                              ;   in Loop: Header=BB0_346 Depth=2
	s_sleep 1
	s_cbranch_execnz .LBB0_346
	s_branch .LBB0_348
.LBB0_345:                              ;   in Loop: Header=BB0_270 Depth=1
	s_branch .LBB0_348
.LBB0_346:                              ;   Parent Loop BB0_270 Depth=1
                                        ; =>  This Inner Loop Header: Depth=2
	v_mov_b32_e32 v0, 1
	s_and_saveexec_b64 s[16:17], s[0:1]
	s_cbranch_execz .LBB0_343
; %bb.347:                              ;   in Loop: Header=BB0_346 Depth=2
	global_load_dword v0, v[3:4], off offset:20 glc
	s_waitcnt vmcnt(0)
	buffer_wbinvl1_vol
	v_and_b32_e32 v0, 1, v0
	s_branch .LBB0_343
.LBB0_348:                              ;   in Loop: Header=BB0_270 Depth=1
	global_load_dwordx2 v[8:9], v[8:9], off
	s_and_saveexec_b64 s[16:17], s[0:1]
	s_cbranch_execz .LBB0_269
; %bb.349:                              ;   in Loop: Header=BB0_270 Depth=1
	global_load_dwordx2 v[3:4], v1, s[2:3] offset:40
	global_load_dwordx2 v[18:19], v1, s[2:3] offset:24 glc
	global_load_dwordx2 v[10:11], v1, s[2:3]
	s_waitcnt vmcnt(0)
	v_readfirstlane_b32 s18, v3
	v_readfirstlane_b32 s19, v4
	s_add_u32 s20, s18, 1
	s_addc_u32 s21, s19, 0
	s_add_u32 s0, s20, s14
	s_addc_u32 s1, s21, s15
	s_cmp_eq_u64 s[0:1], 0
	s_cselect_b32 s1, s21, s1
	s_cselect_b32 s0, s20, s0
	s_and_b64 s[14:15], s[0:1], s[18:19]
	s_mul_i32 s15, s15, 24
	s_mul_hi_u32 s18, s14, 24
	s_mul_i32 s14, s14, 24
	s_add_i32 s15, s18, s15
	v_mov_b32_e32 v0, s15
	v_add_co_u32_e32 v3, vcc, s14, v10
	v_addc_co_u32_e32 v4, vcc, v11, v0, vcc
	v_mov_b32_e32 v16, s0
	global_store_dwordx2 v[3:4], v[18:19], off
	v_mov_b32_e32 v17, s1
	s_waitcnt vmcnt(0)
	global_atomic_cmpswap_x2 v[12:13], v1, v[16:19], s[2:3] offset:24 glc
	s_waitcnt vmcnt(0)
	v_cmp_ne_u64_e32 vcc, v[12:13], v[18:19]
	s_and_b64 exec, exec, vcc
	s_cbranch_execz .LBB0_269
; %bb.350:                              ;   in Loop: Header=BB0_270 Depth=1
	s_mov_b64 s[14:15], 0
.LBB0_351:                              ;   Parent Loop BB0_270 Depth=1
                                        ; =>  This Inner Loop Header: Depth=2
	s_sleep 1
	global_store_dwordx2 v[3:4], v[12:13], off
	v_mov_b32_e32 v10, s0
	v_mov_b32_e32 v11, s1
	s_waitcnt vmcnt(0)
	global_atomic_cmpswap_x2 v[10:11], v1, v[10:13], s[2:3] offset:24 glc
	s_waitcnt vmcnt(0)
	v_cmp_eq_u64_e32 vcc, v[10:11], v[12:13]
	v_mov_b32_e32 v13, v11
	s_or_b64 s[14:15], vcc, s[14:15]
	v_mov_b32_e32 v12, v10
	s_andn2_b64 exec, exec, s[14:15]
	s_cbranch_execnz .LBB0_351
	s_branch .LBB0_269
.LBB0_352:
	s_branch .LBB0_380
.LBB0_353:
                                        ; implicit-def: $vgpr8_vgpr9
	s_cbranch_execz .LBB0_380
; %bb.354:
	v_readfirstlane_b32 s0, v33
	v_mov_b32_e32 v0, 0
	v_mov_b32_e32 v1, 0
	v_cmp_eq_u32_e64 s[0:1], s0, v33
	s_and_saveexec_b64 s[4:5], s[0:1]
	s_cbranch_execz .LBB0_360
; %bb.355:
	v_mov_b32_e32 v3, 0
	global_load_dwordx2 v[10:11], v3, s[2:3] offset:24 glc
	s_waitcnt vmcnt(0)
	buffer_wbinvl1_vol
	global_load_dwordx2 v[0:1], v3, s[2:3] offset:40
	global_load_dwordx2 v[8:9], v3, s[2:3]
	s_waitcnt vmcnt(0)
	v_and_b32_e32 v0, v0, v10
	v_and_b32_e32 v1, v1, v11
	v_mul_lo_u32 v1, v1, 24
	v_mul_hi_u32 v4, v0, 24
	v_mul_lo_u32 v0, v0, 24
	v_add_u32_e32 v1, v4, v1
	v_add_co_u32_e32 v0, vcc, v8, v0
	v_addc_co_u32_e32 v1, vcc, v9, v1, vcc
	global_load_dwordx2 v[8:9], v[0:1], off glc
	s_waitcnt vmcnt(0)
	global_atomic_cmpswap_x2 v[0:1], v3, v[8:11], s[2:3] offset:24 glc
	s_waitcnt vmcnt(0)
	buffer_wbinvl1_vol
	v_cmp_ne_u64_e32 vcc, v[0:1], v[10:11]
	s_and_saveexec_b64 s[10:11], vcc
	s_cbranch_execz .LBB0_359
; %bb.356:
	s_mov_b64 s[12:13], 0
.LBB0_357:                              ; =>This Inner Loop Header: Depth=1
	s_sleep 1
	global_load_dwordx2 v[8:9], v3, s[2:3] offset:40
	global_load_dwordx2 v[12:13], v3, s[2:3]
	v_mov_b32_e32 v11, v1
	v_mov_b32_e32 v10, v0
	s_waitcnt vmcnt(0)
	v_and_b32_e32 v0, v8, v10
	v_mad_u64_u32 v[0:1], s[14:15], v0, 24, v[12:13]
	v_and_b32_e32 v4, v9, v11
	v_mad_u64_u32 v[8:9], s[14:15], v4, 24, v[1:2]
	v_mov_b32_e32 v1, v8
	global_load_dwordx2 v[8:9], v[0:1], off glc
	s_waitcnt vmcnt(0)
	global_atomic_cmpswap_x2 v[0:1], v3, v[8:11], s[2:3] offset:24 glc
	s_waitcnt vmcnt(0)
	buffer_wbinvl1_vol
	v_cmp_eq_u64_e32 vcc, v[0:1], v[10:11]
	s_or_b64 s[12:13], vcc, s[12:13]
	s_andn2_b64 exec, exec, s[12:13]
	s_cbranch_execnz .LBB0_357
; %bb.358:
	s_or_b64 exec, exec, s[12:13]
.LBB0_359:
	s_or_b64 exec, exec, s[10:11]
.LBB0_360:
	s_or_b64 exec, exec, s[4:5]
	s_waitcnt vmcnt(0)
	v_mov_b32_e32 v8, 0
	global_load_dwordx2 v[3:4], v8, s[2:3] offset:40
	global_load_dwordx4 v[10:13], v8, s[2:3]
	v_readfirstlane_b32 s5, v1
	v_readfirstlane_b32 s4, v0
	s_mov_b64 s[10:11], exec
	s_waitcnt vmcnt(0)
	v_readfirstlane_b32 s12, v3
	v_readfirstlane_b32 s13, v4
	s_and_b64 s[12:13], s[12:13], s[4:5]
	s_mul_i32 s14, s13, 24
	s_mul_hi_u32 s15, s12, 24
	s_mul_i32 s16, s12, 24
	s_add_i32 s14, s15, s14
	v_mov_b32_e32 v1, s14
	v_add_co_u32_e32 v0, vcc, s16, v10
	v_addc_co_u32_e32 v1, vcc, v11, v1, vcc
	s_and_saveexec_b64 s[14:15], s[0:1]
	s_cbranch_execz .LBB0_362
; %bb.361:
	v_mov_b32_e32 v15, s11
	v_mov_b32_e32 v14, s10
	;; [unrolled: 1-line block ×4, first 2 shown]
	global_store_dwordx4 v[0:1], v[14:17], off offset:8
.LBB0_362:
	s_or_b64 exec, exec, s[14:15]
	s_lshl_b64 s[10:11], s[12:13], 12
	v_mov_b32_e32 v3, s11
	v_add_co_u32_e32 v12, vcc, s10, v12
	v_addc_co_u32_e32 v13, vcc, v13, v3, vcc
	s_movk_i32 s10, 0xff1f
	v_and_or_b32 v6, v6, s10, 32
	s_mov_b32 s12, 0
	v_mov_b32_e32 v9, v8
	v_readfirstlane_b32 s10, v12
	v_readfirstlane_b32 s11, v13
	v_add_co_u32_e32 v3, vcc, v12, v32
	s_mov_b32 s13, s12
	s_mov_b32 s14, s12
	;; [unrolled: 1-line block ×3, first 2 shown]
	s_nop 0
	global_store_dwordx4 v32, v[6:9], s[10:11]
	v_addc_co_u32_e32 v4, vcc, 0, v13, vcc
	v_mov_b32_e32 v6, s12
	v_mov_b32_e32 v7, s13
	;; [unrolled: 1-line block ×4, first 2 shown]
	global_store_dwordx4 v32, v[6:9], s[10:11] offset:16
	global_store_dwordx4 v32, v[6:9], s[10:11] offset:32
	;; [unrolled: 1-line block ×3, first 2 shown]
	s_and_saveexec_b64 s[10:11], s[0:1]
	s_cbranch_execz .LBB0_370
; %bb.363:
	v_mov_b32_e32 v12, 0
	global_load_dwordx2 v[15:16], v12, s[2:3] offset:32 glc
	global_load_dwordx2 v[6:7], v12, s[2:3] offset:40
	v_mov_b32_e32 v13, s4
	v_mov_b32_e32 v14, s5
	s_waitcnt vmcnt(0)
	v_readfirstlane_b32 s12, v6
	v_readfirstlane_b32 s13, v7
	s_and_b64 s[12:13], s[12:13], s[4:5]
	s_mul_i32 s13, s13, 24
	s_mul_hi_u32 s14, s12, 24
	s_mul_i32 s12, s12, 24
	s_add_i32 s13, s14, s13
	v_mov_b32_e32 v6, s13
	v_add_co_u32_e32 v10, vcc, s12, v10
	v_addc_co_u32_e32 v11, vcc, v11, v6, vcc
	global_store_dwordx2 v[10:11], v[15:16], off
	s_waitcnt vmcnt(0)
	global_atomic_cmpswap_x2 v[8:9], v12, v[13:16], s[2:3] offset:32 glc
	s_waitcnt vmcnt(0)
	v_cmp_ne_u64_e32 vcc, v[8:9], v[15:16]
	s_and_saveexec_b64 s[12:13], vcc
	s_cbranch_execz .LBB0_366
; %bb.364:
	s_mov_b64 s[14:15], 0
.LBB0_365:                              ; =>This Inner Loop Header: Depth=1
	s_sleep 1
	global_store_dwordx2 v[10:11], v[8:9], off
	v_mov_b32_e32 v6, s4
	v_mov_b32_e32 v7, s5
	s_waitcnt vmcnt(0)
	global_atomic_cmpswap_x2 v[6:7], v12, v[6:9], s[2:3] offset:32 glc
	s_waitcnt vmcnt(0)
	v_cmp_eq_u64_e32 vcc, v[6:7], v[8:9]
	v_mov_b32_e32 v9, v7
	s_or_b64 s[14:15], vcc, s[14:15]
	v_mov_b32_e32 v8, v6
	s_andn2_b64 exec, exec, s[14:15]
	s_cbranch_execnz .LBB0_365
.LBB0_366:
	s_or_b64 exec, exec, s[12:13]
	v_mov_b32_e32 v9, 0
	global_load_dwordx2 v[6:7], v9, s[2:3] offset:16
	s_mov_b64 s[12:13], exec
	v_mbcnt_lo_u32_b32 v8, s12, 0
	v_mbcnt_hi_u32_b32 v8, s13, v8
	v_cmp_eq_u32_e32 vcc, 0, v8
	s_and_saveexec_b64 s[14:15], vcc
	s_cbranch_execz .LBB0_368
; %bb.367:
	s_bcnt1_i32_b64 s12, s[12:13]
	v_mov_b32_e32 v8, s12
	s_waitcnt vmcnt(0)
	global_atomic_add_x2 v[6:7], v[8:9], off offset:8
.LBB0_368:
	s_or_b64 exec, exec, s[14:15]
	s_waitcnt vmcnt(0)
	global_load_dwordx2 v[8:9], v[6:7], off offset:16
	s_waitcnt vmcnt(0)
	v_cmp_eq_u64_e32 vcc, 0, v[8:9]
	s_cbranch_vccnz .LBB0_370
; %bb.369:
	global_load_dword v6, v[6:7], off offset:24
	v_mov_b32_e32 v7, 0
	s_waitcnt vmcnt(0)
	v_readfirstlane_b32 s12, v6
	s_and_b32 m0, s12, 0xffffff
	global_store_dwordx2 v[8:9], v[6:7], off
	s_sendmsg sendmsg(MSG_INTERRUPT)
.LBB0_370:
	s_or_b64 exec, exec, s[10:11]
	s_branch .LBB0_374
.LBB0_371:                              ;   in Loop: Header=BB0_374 Depth=1
	s_or_b64 exec, exec, s[10:11]
	v_readfirstlane_b32 s10, v6
	s_cmp_eq_u32 s10, 0
	s_cbranch_scc1 .LBB0_373
; %bb.372:                              ;   in Loop: Header=BB0_374 Depth=1
	s_sleep 1
	s_cbranch_execnz .LBB0_374
	s_branch .LBB0_376
.LBB0_373:
	s_branch .LBB0_376
.LBB0_374:                              ; =>This Inner Loop Header: Depth=1
	v_mov_b32_e32 v6, 1
	s_and_saveexec_b64 s[10:11], s[0:1]
	s_cbranch_execz .LBB0_371
; %bb.375:                              ;   in Loop: Header=BB0_374 Depth=1
	global_load_dword v6, v[0:1], off offset:20 glc
	s_waitcnt vmcnt(0)
	buffer_wbinvl1_vol
	v_and_b32_e32 v6, 1, v6
	s_branch .LBB0_371
.LBB0_376:
	global_load_dwordx2 v[8:9], v[3:4], off
	s_and_saveexec_b64 s[10:11], s[0:1]
	s_cbranch_execz .LBB0_379
; %bb.377:
	v_mov_b32_e32 v3, 0
	global_load_dwordx2 v[0:1], v3, s[2:3] offset:40
	global_load_dwordx2 v[14:15], v3, s[2:3] offset:24 glc
	global_load_dwordx2 v[6:7], v3, s[2:3]
	s_waitcnt vmcnt(0)
	v_readfirstlane_b32 s12, v0
	v_readfirstlane_b32 s13, v1
	s_add_u32 s14, s12, 1
	s_addc_u32 s15, s13, 0
	s_add_u32 s0, s14, s4
	s_addc_u32 s1, s15, s5
	s_cmp_eq_u64 s[0:1], 0
	s_cselect_b32 s1, s15, s1
	s_cselect_b32 s0, s14, s0
	s_and_b64 s[4:5], s[0:1], s[12:13]
	s_mul_i32 s5, s5, 24
	s_mul_hi_u32 s12, s4, 24
	s_mul_i32 s4, s4, 24
	s_add_i32 s5, s12, s5
	v_mov_b32_e32 v1, s5
	v_add_co_u32_e32 v0, vcc, s4, v6
	v_addc_co_u32_e32 v1, vcc, v7, v1, vcc
	v_mov_b32_e32 v12, s0
	global_store_dwordx2 v[0:1], v[14:15], off
	v_mov_b32_e32 v13, s1
	s_waitcnt vmcnt(0)
	global_atomic_cmpswap_x2 v[12:13], v3, v[12:15], s[2:3] offset:24 glc
	s_mov_b64 s[4:5], 0
	s_waitcnt vmcnt(0)
	v_cmp_ne_u64_e32 vcc, v[12:13], v[14:15]
	s_and_b64 exec, exec, vcc
	s_cbranch_execz .LBB0_379
.LBB0_378:                              ; =>This Inner Loop Header: Depth=1
	s_sleep 1
	global_store_dwordx2 v[0:1], v[12:13], off
	v_mov_b32_e32 v10, s0
	v_mov_b32_e32 v11, s1
	s_waitcnt vmcnt(0)
	global_atomic_cmpswap_x2 v[6:7], v3, v[10:13], s[2:3] offset:24 glc
	s_waitcnt vmcnt(0)
	v_cmp_eq_u64_e32 vcc, v[6:7], v[12:13]
	v_mov_b32_e32 v13, v7
	s_or_b64 s[4:5], vcc, s[4:5]
	v_mov_b32_e32 v12, v6
	s_andn2_b64 exec, exec, s[4:5]
	s_cbranch_execnz .LBB0_378
.LBB0_379:
	s_or_b64 exec, exec, s[10:11]
.LBB0_380:
	v_readfirstlane_b32 s0, v33
	v_mov_b32_e32 v0, 0
	v_mov_b32_e32 v1, 0
	v_cmp_eq_u32_e64 s[0:1], s0, v33
	s_and_saveexec_b64 s[4:5], s[0:1]
	s_cbranch_execz .LBB0_386
; %bb.381:
	v_mov_b32_e32 v3, 0
	global_load_dwordx2 v[12:13], v3, s[2:3] offset:24 glc
	s_waitcnt vmcnt(0)
	buffer_wbinvl1_vol
	global_load_dwordx2 v[0:1], v3, s[2:3] offset:40
	global_load_dwordx2 v[6:7], v3, s[2:3]
	s_waitcnt vmcnt(0)
	v_and_b32_e32 v0, v0, v12
	v_and_b32_e32 v1, v1, v13
	v_mul_lo_u32 v1, v1, 24
	v_mul_hi_u32 v4, v0, 24
	v_mul_lo_u32 v0, v0, 24
	v_add_u32_e32 v1, v4, v1
	v_add_co_u32_e32 v0, vcc, v6, v0
	v_addc_co_u32_e32 v1, vcc, v7, v1, vcc
	global_load_dwordx2 v[10:11], v[0:1], off glc
	s_waitcnt vmcnt(0)
	global_atomic_cmpswap_x2 v[0:1], v3, v[10:13], s[2:3] offset:24 glc
	s_waitcnt vmcnt(0)
	buffer_wbinvl1_vol
	v_cmp_ne_u64_e32 vcc, v[0:1], v[12:13]
	s_and_saveexec_b64 s[10:11], vcc
	s_cbranch_execz .LBB0_385
; %bb.382:
	s_mov_b64 s[12:13], 0
.LBB0_383:                              ; =>This Inner Loop Header: Depth=1
	s_sleep 1
	global_load_dwordx2 v[6:7], v3, s[2:3] offset:40
	global_load_dwordx2 v[10:11], v3, s[2:3]
	v_mov_b32_e32 v13, v1
	v_mov_b32_e32 v12, v0
	s_waitcnt vmcnt(0)
	v_and_b32_e32 v0, v6, v12
	v_mad_u64_u32 v[0:1], s[14:15], v0, 24, v[10:11]
	v_and_b32_e32 v4, v7, v13
	v_mad_u64_u32 v[6:7], s[14:15], v4, 24, v[1:2]
	v_mov_b32_e32 v1, v6
	global_load_dwordx2 v[10:11], v[0:1], off glc
	s_waitcnt vmcnt(0)
	global_atomic_cmpswap_x2 v[0:1], v3, v[10:13], s[2:3] offset:24 glc
	s_waitcnt vmcnt(0)
	buffer_wbinvl1_vol
	v_cmp_eq_u64_e32 vcc, v[0:1], v[12:13]
	s_or_b64 s[12:13], vcc, s[12:13]
	s_andn2_b64 exec, exec, s[12:13]
	s_cbranch_execnz .LBB0_383
; %bb.384:
	s_or_b64 exec, exec, s[12:13]
.LBB0_385:
	s_or_b64 exec, exec, s[10:11]
.LBB0_386:
	s_or_b64 exec, exec, s[4:5]
	v_mov_b32_e32 v11, 0
	global_load_dwordx2 v[3:4], v11, s[2:3] offset:40
	global_load_dwordx4 v[12:15], v11, s[2:3]
	v_readfirstlane_b32 s5, v1
	v_readfirstlane_b32 s4, v0
	s_mov_b64 s[10:11], exec
	s_waitcnt vmcnt(0)
	v_readfirstlane_b32 s12, v3
	v_readfirstlane_b32 s13, v4
	s_and_b64 s[12:13], s[12:13], s[4:5]
	s_mul_i32 s14, s13, 24
	s_mul_hi_u32 s15, s12, 24
	s_mul_i32 s16, s12, 24
	s_add_i32 s14, s15, s14
	v_mov_b32_e32 v1, s14
	v_add_co_u32_e32 v0, vcc, s16, v12
	v_addc_co_u32_e32 v1, vcc, v13, v1, vcc
	s_and_saveexec_b64 s[14:15], s[0:1]
	s_cbranch_execz .LBB0_388
; %bb.387:
	v_mov_b32_e32 v17, s11
	v_mov_b32_e32 v16, s10
	;; [unrolled: 1-line block ×4, first 2 shown]
	global_store_dwordx4 v[0:1], v[16:19], off offset:8
.LBB0_388:
	s_or_b64 exec, exec, s[14:15]
	s_lshl_b64 s[10:11], s[12:13], 12
	v_mov_b32_e32 v3, s11
	v_add_co_u32_e32 v6, vcc, s10, v14
	v_addc_co_u32_e32 v7, vcc, v15, v3, vcc
	s_movk_i32 s10, 0xff1f
	v_and_or_b32 v8, v8, s10, 32
	v_add_co_u32_e32 v3, vcc, v6, v32
	v_mov_b32_e32 v10, s22
	v_readfirstlane_b32 s10, v6
	v_readfirstlane_b32 s11, v7
	s_mov_b32 s12, 0
	v_addc_co_u32_e32 v4, vcc, 0, v7, vcc
	s_mov_b32 s13, s12
	s_mov_b32 s14, s12
	s_nop 0
	global_store_dwordx4 v32, v[8:11], s[10:11]
	s_mov_b32 s15, s12
	v_mov_b32_e32 v6, s12
	v_mov_b32_e32 v7, s13
	;; [unrolled: 1-line block ×4, first 2 shown]
	global_store_dwordx4 v32, v[6:9], s[10:11] offset:16
	global_store_dwordx4 v32, v[6:9], s[10:11] offset:32
	;; [unrolled: 1-line block ×3, first 2 shown]
	s_and_saveexec_b64 s[10:11], s[0:1]
	s_cbranch_execz .LBB0_396
; %bb.389:
	v_mov_b32_e32 v14, 0
	global_load_dwordx2 v[17:18], v14, s[2:3] offset:32 glc
	global_load_dwordx2 v[6:7], v14, s[2:3] offset:40
	v_mov_b32_e32 v15, s4
	v_mov_b32_e32 v16, s5
	s_waitcnt vmcnt(0)
	v_readfirstlane_b32 s12, v6
	v_readfirstlane_b32 s13, v7
	s_and_b64 s[12:13], s[12:13], s[4:5]
	s_mul_i32 s13, s13, 24
	s_mul_hi_u32 s14, s12, 24
	s_mul_i32 s12, s12, 24
	s_add_i32 s13, s14, s13
	v_mov_b32_e32 v6, s13
	v_add_co_u32_e32 v10, vcc, s12, v12
	v_addc_co_u32_e32 v11, vcc, v13, v6, vcc
	global_store_dwordx2 v[10:11], v[17:18], off
	s_waitcnt vmcnt(0)
	global_atomic_cmpswap_x2 v[8:9], v14, v[15:18], s[2:3] offset:32 glc
	s_waitcnt vmcnt(0)
	v_cmp_ne_u64_e32 vcc, v[8:9], v[17:18]
	s_and_saveexec_b64 s[12:13], vcc
	s_cbranch_execz .LBB0_392
; %bb.390:
	s_mov_b64 s[14:15], 0
.LBB0_391:                              ; =>This Inner Loop Header: Depth=1
	s_sleep 1
	global_store_dwordx2 v[10:11], v[8:9], off
	v_mov_b32_e32 v6, s4
	v_mov_b32_e32 v7, s5
	s_waitcnt vmcnt(0)
	global_atomic_cmpswap_x2 v[6:7], v14, v[6:9], s[2:3] offset:32 glc
	s_waitcnt vmcnt(0)
	v_cmp_eq_u64_e32 vcc, v[6:7], v[8:9]
	v_mov_b32_e32 v9, v7
	s_or_b64 s[14:15], vcc, s[14:15]
	v_mov_b32_e32 v8, v6
	s_andn2_b64 exec, exec, s[14:15]
	s_cbranch_execnz .LBB0_391
.LBB0_392:
	s_or_b64 exec, exec, s[12:13]
	v_mov_b32_e32 v9, 0
	global_load_dwordx2 v[6:7], v9, s[2:3] offset:16
	s_mov_b64 s[12:13], exec
	v_mbcnt_lo_u32_b32 v8, s12, 0
	v_mbcnt_hi_u32_b32 v8, s13, v8
	v_cmp_eq_u32_e32 vcc, 0, v8
	s_and_saveexec_b64 s[14:15], vcc
	s_cbranch_execz .LBB0_394
; %bb.393:
	s_bcnt1_i32_b64 s12, s[12:13]
	v_mov_b32_e32 v8, s12
	s_waitcnt vmcnt(0)
	global_atomic_add_x2 v[6:7], v[8:9], off offset:8
.LBB0_394:
	s_or_b64 exec, exec, s[14:15]
	s_waitcnt vmcnt(0)
	global_load_dwordx2 v[8:9], v[6:7], off offset:16
	s_waitcnt vmcnt(0)
	v_cmp_eq_u64_e32 vcc, 0, v[8:9]
	s_cbranch_vccnz .LBB0_396
; %bb.395:
	global_load_dword v6, v[6:7], off offset:24
	v_mov_b32_e32 v7, 0
	s_waitcnt vmcnt(0)
	v_readfirstlane_b32 s12, v6
	s_and_b32 m0, s12, 0xffffff
	global_store_dwordx2 v[8:9], v[6:7], off
	s_sendmsg sendmsg(MSG_INTERRUPT)
.LBB0_396:
	s_or_b64 exec, exec, s[10:11]
	s_branch .LBB0_400
.LBB0_397:                              ;   in Loop: Header=BB0_400 Depth=1
	s_or_b64 exec, exec, s[10:11]
	v_readfirstlane_b32 s10, v6
	s_cmp_eq_u32 s10, 0
	s_cbranch_scc1 .LBB0_399
; %bb.398:                              ;   in Loop: Header=BB0_400 Depth=1
	s_sleep 1
	s_cbranch_execnz .LBB0_400
	s_branch .LBB0_402
.LBB0_399:
	s_branch .LBB0_402
.LBB0_400:                              ; =>This Inner Loop Header: Depth=1
	v_mov_b32_e32 v6, 1
	s_and_saveexec_b64 s[10:11], s[0:1]
	s_cbranch_execz .LBB0_397
; %bb.401:                              ;   in Loop: Header=BB0_400 Depth=1
	global_load_dword v6, v[0:1], off offset:20 glc
	s_waitcnt vmcnt(0)
	buffer_wbinvl1_vol
	v_and_b32_e32 v6, 1, v6
	s_branch .LBB0_397
.LBB0_402:
	global_load_dwordx2 v[6:7], v[3:4], off
	s_and_saveexec_b64 s[10:11], s[0:1]
	s_cbranch_execz .LBB0_405
; %bb.403:
	v_mov_b32_e32 v3, 0
	global_load_dwordx2 v[0:1], v3, s[2:3] offset:40
	global_load_dwordx2 v[12:13], v3, s[2:3] offset:24 glc
	global_load_dwordx2 v[8:9], v3, s[2:3]
	s_waitcnt vmcnt(0)
	v_readfirstlane_b32 s12, v0
	v_readfirstlane_b32 s13, v1
	s_add_u32 s14, s12, 1
	s_addc_u32 s15, s13, 0
	s_add_u32 s0, s14, s4
	s_addc_u32 s1, s15, s5
	s_cmp_eq_u64 s[0:1], 0
	s_cselect_b32 s1, s15, s1
	s_cselect_b32 s0, s14, s0
	s_and_b64 s[4:5], s[0:1], s[12:13]
	s_mul_i32 s5, s5, 24
	s_mul_hi_u32 s12, s4, 24
	s_mul_i32 s4, s4, 24
	s_add_i32 s5, s12, s5
	v_mov_b32_e32 v1, s5
	v_add_co_u32_e32 v0, vcc, s4, v8
	v_addc_co_u32_e32 v1, vcc, v9, v1, vcc
	v_mov_b32_e32 v10, s0
	global_store_dwordx2 v[0:1], v[12:13], off
	v_mov_b32_e32 v11, s1
	s_waitcnt vmcnt(0)
	global_atomic_cmpswap_x2 v[10:11], v3, v[10:13], s[2:3] offset:24 glc
	s_mov_b64 s[4:5], 0
	s_waitcnt vmcnt(0)
	v_cmp_ne_u64_e32 vcc, v[10:11], v[12:13]
	s_and_b64 exec, exec, vcc
	s_cbranch_execz .LBB0_405
.LBB0_404:                              ; =>This Inner Loop Header: Depth=1
	s_sleep 1
	global_store_dwordx2 v[0:1], v[10:11], off
	v_mov_b32_e32 v8, s0
	v_mov_b32_e32 v9, s1
	s_waitcnt vmcnt(0)
	global_atomic_cmpswap_x2 v[8:9], v3, v[8:11], s[2:3] offset:24 glc
	s_waitcnt vmcnt(0)
	v_cmp_eq_u64_e32 vcc, v[8:9], v[10:11]
	v_mov_b32_e32 v11, v9
	s_or_b64 s[4:5], vcc, s[4:5]
	v_mov_b32_e32 v10, v8
	s_andn2_b64 exec, exec, s[4:5]
	s_cbranch_execnz .LBB0_404
.LBB0_405:
	s_or_b64 exec, exec, s[10:11]
	v_readfirstlane_b32 s0, v33
	v_mov_b32_e32 v0, 0
	v_mov_b32_e32 v1, 0
	v_cmp_eq_u32_e64 s[0:1], s0, v33
	s_and_saveexec_b64 s[4:5], s[0:1]
	s_cbranch_execz .LBB0_411
; %bb.406:
	v_mov_b32_e32 v3, 0
	global_load_dwordx2 v[10:11], v3, s[2:3] offset:24 glc
	s_waitcnt vmcnt(0)
	buffer_wbinvl1_vol
	global_load_dwordx2 v[0:1], v3, s[2:3] offset:40
	global_load_dwordx2 v[8:9], v3, s[2:3]
	s_waitcnt vmcnt(0)
	v_and_b32_e32 v0, v0, v10
	v_and_b32_e32 v1, v1, v11
	v_mul_lo_u32 v1, v1, 24
	v_mul_hi_u32 v4, v0, 24
	v_mul_lo_u32 v0, v0, 24
	v_add_u32_e32 v1, v4, v1
	v_add_co_u32_e32 v0, vcc, v8, v0
	v_addc_co_u32_e32 v1, vcc, v9, v1, vcc
	global_load_dwordx2 v[8:9], v[0:1], off glc
	s_waitcnt vmcnt(0)
	global_atomic_cmpswap_x2 v[0:1], v3, v[8:11], s[2:3] offset:24 glc
	s_waitcnt vmcnt(0)
	buffer_wbinvl1_vol
	v_cmp_ne_u64_e32 vcc, v[0:1], v[10:11]
	s_and_saveexec_b64 s[10:11], vcc
	s_cbranch_execz .LBB0_410
; %bb.407:
	s_mov_b64 s[12:13], 0
.LBB0_408:                              ; =>This Inner Loop Header: Depth=1
	s_sleep 1
	global_load_dwordx2 v[8:9], v3, s[2:3] offset:40
	global_load_dwordx2 v[12:13], v3, s[2:3]
	v_mov_b32_e32 v11, v1
	v_mov_b32_e32 v10, v0
	s_waitcnt vmcnt(0)
	v_and_b32_e32 v0, v8, v10
	v_mad_u64_u32 v[0:1], s[14:15], v0, 24, v[12:13]
	v_and_b32_e32 v4, v9, v11
	v_mad_u64_u32 v[8:9], s[14:15], v4, 24, v[1:2]
	v_mov_b32_e32 v1, v8
	global_load_dwordx2 v[8:9], v[0:1], off glc
	s_waitcnt vmcnt(0)
	global_atomic_cmpswap_x2 v[0:1], v3, v[8:11], s[2:3] offset:24 glc
	s_waitcnt vmcnt(0)
	buffer_wbinvl1_vol
	v_cmp_eq_u64_e32 vcc, v[0:1], v[10:11]
	s_or_b64 s[12:13], vcc, s[12:13]
	s_andn2_b64 exec, exec, s[12:13]
	s_cbranch_execnz .LBB0_408
; %bb.409:
	s_or_b64 exec, exec, s[12:13]
.LBB0_410:
	s_or_b64 exec, exec, s[10:11]
.LBB0_411:
	s_or_b64 exec, exec, s[4:5]
	v_mov_b32_e32 v9, 0
	global_load_dwordx2 v[3:4], v9, s[2:3] offset:40
	global_load_dwordx4 v[10:13], v9, s[2:3]
	v_readfirstlane_b32 s5, v1
	v_readfirstlane_b32 s4, v0
	s_mov_b64 s[10:11], exec
	s_waitcnt vmcnt(0)
	v_readfirstlane_b32 s12, v3
	v_readfirstlane_b32 s13, v4
	s_and_b64 s[12:13], s[12:13], s[4:5]
	s_mul_i32 s14, s13, 24
	s_mul_hi_u32 s15, s12, 24
	s_mul_i32 s16, s12, 24
	s_add_i32 s14, s15, s14
	v_mov_b32_e32 v1, s14
	v_add_co_u32_e32 v0, vcc, s16, v10
	v_addc_co_u32_e32 v1, vcc, v11, v1, vcc
	s_and_saveexec_b64 s[14:15], s[0:1]
	s_cbranch_execz .LBB0_413
; %bb.412:
	v_mov_b32_e32 v15, s11
	v_mov_b32_e32 v14, s10
	;; [unrolled: 1-line block ×4, first 2 shown]
	global_store_dwordx4 v[0:1], v[14:17], off offset:8
.LBB0_413:
	s_or_b64 exec, exec, s[14:15]
	s_lshl_b64 s[10:11], s[12:13], 12
	v_mov_b32_e32 v3, s11
	v_add_co_u32_e32 v12, vcc, s10, v12
	v_addc_co_u32_e32 v13, vcc, v13, v3, vcc
	s_movk_i32 s10, 0xff1f
	v_and_or_b32 v6, v6, s10, 32
	v_mov_b32_e32 v8, s23
	v_readfirstlane_b32 s10, v12
	v_readfirstlane_b32 s11, v13
	s_mov_b32 s12, 0
	v_add_co_u32_e32 v3, vcc, v12, v32
	s_mov_b32 s13, s12
	s_mov_b32 s14, s12
	s_nop 0
	global_store_dwordx4 v32, v[6:9], s[10:11]
	s_mov_b32 s15, s12
	v_mov_b32_e32 v6, s12
	v_addc_co_u32_e32 v4, vcc, 0, v13, vcc
	v_mov_b32_e32 v7, s13
	v_mov_b32_e32 v8, s14
	;; [unrolled: 1-line block ×3, first 2 shown]
	global_store_dwordx4 v32, v[6:9], s[10:11] offset:16
	global_store_dwordx4 v32, v[6:9], s[10:11] offset:32
	;; [unrolled: 1-line block ×3, first 2 shown]
	s_and_saveexec_b64 s[10:11], s[0:1]
	s_cbranch_execz .LBB0_421
; %bb.414:
	v_mov_b32_e32 v12, 0
	global_load_dwordx2 v[15:16], v12, s[2:3] offset:32 glc
	global_load_dwordx2 v[6:7], v12, s[2:3] offset:40
	v_mov_b32_e32 v13, s4
	v_mov_b32_e32 v14, s5
	s_waitcnt vmcnt(0)
	v_readfirstlane_b32 s12, v6
	v_readfirstlane_b32 s13, v7
	s_and_b64 s[12:13], s[12:13], s[4:5]
	s_mul_i32 s13, s13, 24
	s_mul_hi_u32 s14, s12, 24
	s_mul_i32 s12, s12, 24
	s_add_i32 s13, s14, s13
	v_mov_b32_e32 v6, s13
	v_add_co_u32_e32 v10, vcc, s12, v10
	v_addc_co_u32_e32 v11, vcc, v11, v6, vcc
	global_store_dwordx2 v[10:11], v[15:16], off
	s_waitcnt vmcnt(0)
	global_atomic_cmpswap_x2 v[8:9], v12, v[13:16], s[2:3] offset:32 glc
	s_waitcnt vmcnt(0)
	v_cmp_ne_u64_e32 vcc, v[8:9], v[15:16]
	s_and_saveexec_b64 s[12:13], vcc
	s_cbranch_execz .LBB0_417
; %bb.415:
	s_mov_b64 s[14:15], 0
.LBB0_416:                              ; =>This Inner Loop Header: Depth=1
	s_sleep 1
	global_store_dwordx2 v[10:11], v[8:9], off
	v_mov_b32_e32 v6, s4
	v_mov_b32_e32 v7, s5
	s_waitcnt vmcnt(0)
	global_atomic_cmpswap_x2 v[6:7], v12, v[6:9], s[2:3] offset:32 glc
	s_waitcnt vmcnt(0)
	v_cmp_eq_u64_e32 vcc, v[6:7], v[8:9]
	v_mov_b32_e32 v9, v7
	s_or_b64 s[14:15], vcc, s[14:15]
	v_mov_b32_e32 v8, v6
	s_andn2_b64 exec, exec, s[14:15]
	s_cbranch_execnz .LBB0_416
.LBB0_417:
	s_or_b64 exec, exec, s[12:13]
	v_mov_b32_e32 v9, 0
	global_load_dwordx2 v[6:7], v9, s[2:3] offset:16
	s_mov_b64 s[12:13], exec
	v_mbcnt_lo_u32_b32 v8, s12, 0
	v_mbcnt_hi_u32_b32 v8, s13, v8
	v_cmp_eq_u32_e32 vcc, 0, v8
	s_and_saveexec_b64 s[14:15], vcc
	s_cbranch_execz .LBB0_419
; %bb.418:
	s_bcnt1_i32_b64 s12, s[12:13]
	v_mov_b32_e32 v8, s12
	s_waitcnt vmcnt(0)
	global_atomic_add_x2 v[6:7], v[8:9], off offset:8
.LBB0_419:
	s_or_b64 exec, exec, s[14:15]
	s_waitcnt vmcnt(0)
	global_load_dwordx2 v[8:9], v[6:7], off offset:16
	s_waitcnt vmcnt(0)
	v_cmp_eq_u64_e32 vcc, 0, v[8:9]
	s_cbranch_vccnz .LBB0_421
; %bb.420:
	global_load_dword v6, v[6:7], off offset:24
	v_mov_b32_e32 v7, 0
	s_waitcnt vmcnt(0)
	v_readfirstlane_b32 s12, v6
	s_and_b32 m0, s12, 0xffffff
	global_store_dwordx2 v[8:9], v[6:7], off
	s_sendmsg sendmsg(MSG_INTERRUPT)
.LBB0_421:
	s_or_b64 exec, exec, s[10:11]
	s_branch .LBB0_425
.LBB0_422:                              ;   in Loop: Header=BB0_425 Depth=1
	s_or_b64 exec, exec, s[10:11]
	v_readfirstlane_b32 s10, v6
	s_cmp_eq_u32 s10, 0
	s_cbranch_scc1 .LBB0_424
; %bb.423:                              ;   in Loop: Header=BB0_425 Depth=1
	s_sleep 1
	s_cbranch_execnz .LBB0_425
	s_branch .LBB0_427
.LBB0_424:
	s_branch .LBB0_427
.LBB0_425:                              ; =>This Inner Loop Header: Depth=1
	v_mov_b32_e32 v6, 1
	s_and_saveexec_b64 s[10:11], s[0:1]
	s_cbranch_execz .LBB0_422
; %bb.426:                              ;   in Loop: Header=BB0_425 Depth=1
	global_load_dword v6, v[0:1], off offset:20 glc
	s_waitcnt vmcnt(0)
	buffer_wbinvl1_vol
	v_and_b32_e32 v6, 1, v6
	s_branch .LBB0_422
.LBB0_427:
	global_load_dwordx2 v[3:4], v[3:4], off
	s_and_saveexec_b64 s[10:11], s[0:1]
	s_cbranch_execz .LBB0_430
; %bb.428:
	v_mov_b32_e32 v10, 0
	global_load_dwordx2 v[0:1], v10, s[2:3] offset:40
	global_load_dwordx2 v[13:14], v10, s[2:3] offset:24 glc
	global_load_dwordx2 v[6:7], v10, s[2:3]
	s_waitcnt vmcnt(0)
	v_readfirstlane_b32 s12, v0
	v_readfirstlane_b32 s13, v1
	s_add_u32 s14, s12, 1
	s_addc_u32 s15, s13, 0
	s_add_u32 s0, s14, s4
	s_addc_u32 s1, s15, s5
	s_cmp_eq_u64 s[0:1], 0
	s_cselect_b32 s1, s15, s1
	s_cselect_b32 s0, s14, s0
	s_and_b64 s[4:5], s[0:1], s[12:13]
	s_mul_i32 s5, s5, 24
	s_mul_hi_u32 s12, s4, 24
	s_mul_i32 s4, s4, 24
	s_add_i32 s5, s12, s5
	v_mov_b32_e32 v1, s5
	v_add_co_u32_e32 v0, vcc, s4, v6
	v_addc_co_u32_e32 v1, vcc, v7, v1, vcc
	v_mov_b32_e32 v11, s0
	global_store_dwordx2 v[0:1], v[13:14], off
	v_mov_b32_e32 v12, s1
	s_waitcnt vmcnt(0)
	global_atomic_cmpswap_x2 v[8:9], v10, v[11:14], s[2:3] offset:24 glc
	s_mov_b64 s[4:5], 0
	s_waitcnt vmcnt(0)
	v_cmp_ne_u64_e32 vcc, v[8:9], v[13:14]
	s_and_b64 exec, exec, vcc
	s_cbranch_execz .LBB0_430
.LBB0_429:                              ; =>This Inner Loop Header: Depth=1
	s_sleep 1
	global_store_dwordx2 v[0:1], v[8:9], off
	v_mov_b32_e32 v6, s0
	v_mov_b32_e32 v7, s1
	s_waitcnt vmcnt(0)
	global_atomic_cmpswap_x2 v[6:7], v10, v[6:9], s[2:3] offset:24 glc
	s_waitcnt vmcnt(0)
	v_cmp_eq_u64_e32 vcc, v[6:7], v[8:9]
	v_mov_b32_e32 v9, v7
	s_or_b64 s[4:5], vcc, s[4:5]
	v_mov_b32_e32 v8, v6
	s_andn2_b64 exec, exec, s[4:5]
	s_cbranch_execnz .LBB0_429
.LBB0_430:
	s_or_b64 exec, exec, s[10:11]
	v_readfirstlane_b32 s0, v33
	v_mov_b32_e32 v0, 0
	v_mov_b32_e32 v1, 0
	v_cmp_eq_u32_e64 s[0:1], s0, v33
	s_and_saveexec_b64 s[4:5], s[0:1]
	s_cbranch_execz .LBB0_436
; %bb.431:
	v_mov_b32_e32 v6, 0
	global_load_dwordx2 v[9:10], v6, s[2:3] offset:24 glc
	s_waitcnt vmcnt(0)
	buffer_wbinvl1_vol
	global_load_dwordx2 v[0:1], v6, s[2:3] offset:40
	global_load_dwordx2 v[7:8], v6, s[2:3]
	s_waitcnt vmcnt(0)
	v_and_b32_e32 v0, v0, v9
	v_and_b32_e32 v1, v1, v10
	v_mul_lo_u32 v1, v1, 24
	v_mul_hi_u32 v11, v0, 24
	v_mul_lo_u32 v0, v0, 24
	v_add_u32_e32 v1, v11, v1
	v_add_co_u32_e32 v0, vcc, v7, v0
	v_addc_co_u32_e32 v1, vcc, v8, v1, vcc
	global_load_dwordx2 v[7:8], v[0:1], off glc
	s_waitcnt vmcnt(0)
	global_atomic_cmpswap_x2 v[0:1], v6, v[7:10], s[2:3] offset:24 glc
	s_waitcnt vmcnt(0)
	buffer_wbinvl1_vol
	v_cmp_ne_u64_e32 vcc, v[0:1], v[9:10]
	s_and_saveexec_b64 s[10:11], vcc
	s_cbranch_execz .LBB0_435
; %bb.432:
	s_mov_b64 s[12:13], 0
.LBB0_433:                              ; =>This Inner Loop Header: Depth=1
	s_sleep 1
	global_load_dwordx2 v[7:8], v6, s[2:3] offset:40
	global_load_dwordx2 v[11:12], v6, s[2:3]
	v_mov_b32_e32 v10, v1
	v_mov_b32_e32 v9, v0
	s_waitcnt vmcnt(0)
	v_and_b32_e32 v0, v7, v9
	v_mad_u64_u32 v[0:1], s[14:15], v0, 24, v[11:12]
	v_and_b32_e32 v7, v8, v10
	v_mad_u64_u32 v[7:8], s[14:15], v7, 24, v[1:2]
	v_mov_b32_e32 v1, v7
	global_load_dwordx2 v[7:8], v[0:1], off glc
	s_waitcnt vmcnt(0)
	global_atomic_cmpswap_x2 v[0:1], v6, v[7:10], s[2:3] offset:24 glc
	s_waitcnt vmcnt(0)
	buffer_wbinvl1_vol
	v_cmp_eq_u64_e32 vcc, v[0:1], v[9:10]
	s_or_b64 s[12:13], vcc, s[12:13]
	s_andn2_b64 exec, exec, s[12:13]
	s_cbranch_execnz .LBB0_433
; %bb.434:
	s_or_b64 exec, exec, s[12:13]
.LBB0_435:
	s_or_b64 exec, exec, s[10:11]
.LBB0_436:
	s_or_b64 exec, exec, s[4:5]
	v_mov_b32_e32 v6, 0
	global_load_dwordx2 v[11:12], v6, s[2:3] offset:40
	global_load_dwordx4 v[7:10], v6, s[2:3]
	v_readfirstlane_b32 s5, v1
	v_readfirstlane_b32 s4, v0
	s_mov_b64 s[10:11], exec
	s_waitcnt vmcnt(0)
	v_readfirstlane_b32 s12, v11
	v_readfirstlane_b32 s13, v12
	s_and_b64 s[12:13], s[12:13], s[4:5]
	s_mul_i32 s14, s13, 24
	s_mul_hi_u32 s15, s12, 24
	s_mul_i32 s16, s12, 24
	s_add_i32 s14, s15, s14
	v_mov_b32_e32 v1, s14
	v_add_co_u32_e32 v0, vcc, s16, v7
	v_addc_co_u32_e32 v1, vcc, v8, v1, vcc
	s_and_saveexec_b64 s[14:15], s[0:1]
	s_cbranch_execz .LBB0_438
; %bb.437:
	v_mov_b32_e32 v12, s11
	v_mov_b32_e32 v11, s10
	;; [unrolled: 1-line block ×4, first 2 shown]
	global_store_dwordx4 v[0:1], v[11:14], off offset:8
.LBB0_438:
	s_or_b64 exec, exec, s[14:15]
	s_lshl_b64 s[10:11], s[12:13], 12
	v_mov_b32_e32 v11, s11
	v_add_co_u32_e32 v12, vcc, s10, v9
	v_addc_co_u32_e32 v11, vcc, v10, v11, vcc
	s_movk_i32 s10, 0xff1f
	v_and_or_b32 v3, v3, s10, 32
	v_readfirstlane_b32 s10, v12
	v_readfirstlane_b32 s11, v11
	s_mov_b32 s12, 0
	v_add_co_u32_e32 v9, vcc, v12, v32
	s_mov_b32 s13, s12
	s_mov_b32 s14, s12
	s_waitcnt lgkmcnt(0)
	global_store_dwordx4 v32, v[3:6], s[10:11]
	s_mov_b32 s15, s12
	v_mov_b32_e32 v3, s12
	v_addc_co_u32_e32 v10, vcc, 0, v11, vcc
	v_mov_b32_e32 v4, s13
	v_mov_b32_e32 v5, s14
	;; [unrolled: 1-line block ×3, first 2 shown]
	global_store_dwordx4 v32, v[3:6], s[10:11] offset:16
	global_store_dwordx4 v32, v[3:6], s[10:11] offset:32
	;; [unrolled: 1-line block ×3, first 2 shown]
	s_and_saveexec_b64 s[10:11], s[0:1]
	s_cbranch_execz .LBB0_446
; %bb.439:
	v_mov_b32_e32 v11, 0
	global_load_dwordx2 v[14:15], v11, s[2:3] offset:32 glc
	global_load_dwordx2 v[3:4], v11, s[2:3] offset:40
	v_mov_b32_e32 v12, s4
	v_mov_b32_e32 v13, s5
	s_waitcnt vmcnt(0)
	v_readfirstlane_b32 s12, v3
	v_readfirstlane_b32 s13, v4
	s_and_b64 s[12:13], s[12:13], s[4:5]
	s_mul_i32 s13, s13, 24
	s_mul_hi_u32 s14, s12, 24
	s_mul_i32 s12, s12, 24
	s_add_i32 s13, s14, s13
	v_mov_b32_e32 v3, s13
	v_add_co_u32_e32 v7, vcc, s12, v7
	v_addc_co_u32_e32 v8, vcc, v8, v3, vcc
	global_store_dwordx2 v[7:8], v[14:15], off
	s_waitcnt vmcnt(0)
	global_atomic_cmpswap_x2 v[5:6], v11, v[12:15], s[2:3] offset:32 glc
	s_waitcnt vmcnt(0)
	v_cmp_ne_u64_e32 vcc, v[5:6], v[14:15]
	s_and_saveexec_b64 s[12:13], vcc
	s_cbranch_execz .LBB0_442
; %bb.440:
	s_mov_b64 s[14:15], 0
.LBB0_441:                              ; =>This Inner Loop Header: Depth=1
	s_sleep 1
	global_store_dwordx2 v[7:8], v[5:6], off
	v_mov_b32_e32 v3, s4
	v_mov_b32_e32 v4, s5
	s_waitcnt vmcnt(0)
	global_atomic_cmpswap_x2 v[3:4], v11, v[3:6], s[2:3] offset:32 glc
	s_waitcnt vmcnt(0)
	v_cmp_eq_u64_e32 vcc, v[3:4], v[5:6]
	v_mov_b32_e32 v6, v4
	s_or_b64 s[14:15], vcc, s[14:15]
	v_mov_b32_e32 v5, v3
	s_andn2_b64 exec, exec, s[14:15]
	s_cbranch_execnz .LBB0_441
.LBB0_442:
	s_or_b64 exec, exec, s[12:13]
	v_mov_b32_e32 v6, 0
	global_load_dwordx2 v[3:4], v6, s[2:3] offset:16
	s_mov_b64 s[12:13], exec
	v_mbcnt_lo_u32_b32 v5, s12, 0
	v_mbcnt_hi_u32_b32 v5, s13, v5
	v_cmp_eq_u32_e32 vcc, 0, v5
	s_and_saveexec_b64 s[14:15], vcc
	s_cbranch_execz .LBB0_444
; %bb.443:
	s_bcnt1_i32_b64 s12, s[12:13]
	v_mov_b32_e32 v5, s12
	s_waitcnt vmcnt(0)
	global_atomic_add_x2 v[3:4], v[5:6], off offset:8
.LBB0_444:
	s_or_b64 exec, exec, s[14:15]
	s_waitcnt vmcnt(0)
	global_load_dwordx2 v[5:6], v[3:4], off offset:16
	s_waitcnt vmcnt(0)
	v_cmp_eq_u64_e32 vcc, 0, v[5:6]
	s_cbranch_vccnz .LBB0_446
; %bb.445:
	global_load_dword v3, v[3:4], off offset:24
	v_mov_b32_e32 v4, 0
	s_waitcnt vmcnt(0)
	v_readfirstlane_b32 s12, v3
	s_and_b32 m0, s12, 0xffffff
	global_store_dwordx2 v[5:6], v[3:4], off
	s_sendmsg sendmsg(MSG_INTERRUPT)
.LBB0_446:
	s_or_b64 exec, exec, s[10:11]
	s_branch .LBB0_450
.LBB0_447:                              ;   in Loop: Header=BB0_450 Depth=1
	s_or_b64 exec, exec, s[10:11]
	v_readfirstlane_b32 s10, v3
	s_cmp_eq_u32 s10, 0
	s_cbranch_scc1 .LBB0_449
; %bb.448:                              ;   in Loop: Header=BB0_450 Depth=1
	s_sleep 1
	s_cbranch_execnz .LBB0_450
	s_branch .LBB0_452
.LBB0_449:
	s_branch .LBB0_452
.LBB0_450:                              ; =>This Inner Loop Header: Depth=1
	v_mov_b32_e32 v3, 1
	s_and_saveexec_b64 s[10:11], s[0:1]
	s_cbranch_execz .LBB0_447
; %bb.451:                              ;   in Loop: Header=BB0_450 Depth=1
	global_load_dword v3, v[0:1], off offset:20 glc
	s_waitcnt vmcnt(0)
	buffer_wbinvl1_vol
	v_and_b32_e32 v3, 1, v3
	s_branch .LBB0_447
.LBB0_452:
	global_load_dwordx2 v[0:1], v[9:10], off
	s_and_saveexec_b64 s[10:11], s[0:1]
	s_cbranch_execz .LBB0_455
; %bb.453:
	v_mov_b32_e32 v9, 0
	global_load_dwordx2 v[3:4], v9, s[2:3] offset:40
	global_load_dwordx2 v[12:13], v9, s[2:3] offset:24 glc
	global_load_dwordx2 v[5:6], v9, s[2:3]
	s_waitcnt vmcnt(2)
	v_readfirstlane_b32 s12, v3
	v_readfirstlane_b32 s13, v4
	s_add_u32 s14, s12, 1
	s_addc_u32 s15, s13, 0
	s_add_u32 s0, s14, s4
	s_addc_u32 s1, s15, s5
	s_cmp_eq_u64 s[0:1], 0
	s_cselect_b32 s1, s15, s1
	s_cselect_b32 s0, s14, s0
	s_and_b64 s[4:5], s[0:1], s[12:13]
	s_mul_i32 s5, s5, 24
	s_mul_hi_u32 s12, s4, 24
	s_mul_i32 s4, s4, 24
	s_add_i32 s5, s12, s5
	v_mov_b32_e32 v3, s5
	s_waitcnt vmcnt(0)
	v_add_co_u32_e32 v7, vcc, s4, v5
	v_addc_co_u32_e32 v8, vcc, v6, v3, vcc
	v_mov_b32_e32 v10, s0
	global_store_dwordx2 v[7:8], v[12:13], off
	v_mov_b32_e32 v11, s1
	s_waitcnt vmcnt(0)
	global_atomic_cmpswap_x2 v[5:6], v9, v[10:13], s[2:3] offset:24 glc
	s_mov_b64 s[4:5], 0
	s_waitcnt vmcnt(0)
	v_cmp_ne_u64_e32 vcc, v[5:6], v[12:13]
	s_and_b64 exec, exec, vcc
	s_cbranch_execz .LBB0_455
.LBB0_454:                              ; =>This Inner Loop Header: Depth=1
	s_sleep 1
	global_store_dwordx2 v[7:8], v[5:6], off
	v_mov_b32_e32 v3, s0
	v_mov_b32_e32 v4, s1
	s_waitcnt vmcnt(0)
	global_atomic_cmpswap_x2 v[3:4], v9, v[3:6], s[2:3] offset:24 glc
	s_waitcnt vmcnt(0)
	v_cmp_eq_u64_e32 vcc, v[3:4], v[5:6]
	v_mov_b32_e32 v6, v4
	s_or_b64 s[4:5], vcc, s[4:5]
	v_mov_b32_e32 v5, v3
	s_andn2_b64 exec, exec, s[4:5]
	s_cbranch_execnz .LBB0_454
.LBB0_455:
	s_or_b64 exec, exec, s[10:11]
	v_readfirstlane_b32 s0, v33
	v_mov_b32_e32 v8, 0
	v_mov_b32_e32 v9, 0
	v_cmp_eq_u32_e64 s[0:1], s0, v33
	s_and_saveexec_b64 s[4:5], s[0:1]
	s_cbranch_execz .LBB0_461
; %bb.456:
	v_mov_b32_e32 v3, 0
	global_load_dwordx2 v[6:7], v3, s[2:3] offset:24 glc
	s_waitcnt vmcnt(0)
	buffer_wbinvl1_vol
	global_load_dwordx2 v[4:5], v3, s[2:3] offset:40
	global_load_dwordx2 v[8:9], v3, s[2:3]
	s_waitcnt vmcnt(1)
	v_and_b32_e32 v4, v4, v6
	v_and_b32_e32 v5, v5, v7
	v_mul_lo_u32 v5, v5, 24
	v_mul_hi_u32 v10, v4, 24
	v_mul_lo_u32 v4, v4, 24
	v_add_u32_e32 v5, v10, v5
	s_waitcnt vmcnt(0)
	v_add_co_u32_e32 v4, vcc, v8, v4
	v_addc_co_u32_e32 v5, vcc, v9, v5, vcc
	global_load_dwordx2 v[4:5], v[4:5], off glc
	s_waitcnt vmcnt(0)
	global_atomic_cmpswap_x2 v[8:9], v3, v[4:7], s[2:3] offset:24 glc
	s_waitcnt vmcnt(0)
	buffer_wbinvl1_vol
	v_cmp_ne_u64_e32 vcc, v[8:9], v[6:7]
	s_and_saveexec_b64 s[10:11], vcc
	s_cbranch_execz .LBB0_460
; %bb.457:
	s_mov_b64 s[12:13], 0
.LBB0_458:                              ; =>This Inner Loop Header: Depth=1
	s_sleep 1
	global_load_dwordx2 v[4:5], v3, s[2:3] offset:40
	global_load_dwordx2 v[10:11], v3, s[2:3]
	v_mov_b32_e32 v6, v8
	v_mov_b32_e32 v7, v9
	s_waitcnt vmcnt(1)
	v_and_b32_e32 v4, v4, v6
	s_waitcnt vmcnt(0)
	v_mad_u64_u32 v[8:9], s[14:15], v4, 24, v[10:11]
	v_and_b32_e32 v5, v5, v7
	v_mov_b32_e32 v4, v9
	v_mad_u64_u32 v[4:5], s[14:15], v5, 24, v[4:5]
	v_mov_b32_e32 v9, v4
	global_load_dwordx2 v[4:5], v[8:9], off glc
	s_waitcnt vmcnt(0)
	global_atomic_cmpswap_x2 v[8:9], v3, v[4:7], s[2:3] offset:24 glc
	s_waitcnt vmcnt(0)
	buffer_wbinvl1_vol
	v_cmp_eq_u64_e32 vcc, v[8:9], v[6:7]
	s_or_b64 s[12:13], vcc, s[12:13]
	s_andn2_b64 exec, exec, s[12:13]
	s_cbranch_execnz .LBB0_458
; %bb.459:
	s_or_b64 exec, exec, s[12:13]
.LBB0_460:
	s_or_b64 exec, exec, s[10:11]
.LBB0_461:
	s_or_b64 exec, exec, s[4:5]
	v_mov_b32_e32 v3, 0
	global_load_dwordx2 v[10:11], v3, s[2:3] offset:40
	global_load_dwordx4 v[4:7], v3, s[2:3]
	v_readfirstlane_b32 s5, v9
	v_readfirstlane_b32 s4, v8
	s_mov_b64 s[10:11], exec
	s_waitcnt vmcnt(1)
	v_readfirstlane_b32 s12, v10
	v_readfirstlane_b32 s13, v11
	s_and_b64 s[12:13], s[12:13], s[4:5]
	s_mul_i32 s14, s13, 24
	s_mul_hi_u32 s15, s12, 24
	s_mul_i32 s16, s12, 24
	s_add_i32 s14, s15, s14
	v_mov_b32_e32 v9, s14
	s_waitcnt vmcnt(0)
	v_add_co_u32_e32 v8, vcc, s16, v4
	v_addc_co_u32_e32 v9, vcc, v5, v9, vcc
	s_and_saveexec_b64 s[14:15], s[0:1]
	s_cbranch_execz .LBB0_463
; %bb.462:
	v_mov_b32_e32 v10, s10
	v_mov_b32_e32 v11, s11
	;; [unrolled: 1-line block ×4, first 2 shown]
	global_store_dwordx4 v[8:9], v[10:13], off offset:8
.LBB0_463:
	s_or_b64 exec, exec, s[14:15]
	s_lshl_b64 s[10:11], s[12:13], 12
	v_mov_b32_e32 v10, s11
	v_add_co_u32_e32 v6, vcc, s10, v6
	v_addc_co_u32_e32 v7, vcc, v7, v10, vcc
	s_movk_i32 s10, 0xff1d
	v_and_or_b32 v0, v0, s10, 34
	v_readfirstlane_b32 s10, v6
	v_readfirstlane_b32 s11, v7
	s_mov_b32 s12, 0
	s_mov_b32 s13, s12
	;; [unrolled: 1-line block ×4, first 2 shown]
	s_nop 0
	global_store_dwordx4 v32, v[0:3], s[10:11]
	s_nop 0
	v_mov_b32_e32 v0, s12
	v_mov_b32_e32 v1, s13
	;; [unrolled: 1-line block ×4, first 2 shown]
	global_store_dwordx4 v32, v[0:3], s[10:11] offset:16
	global_store_dwordx4 v32, v[0:3], s[10:11] offset:32
	;; [unrolled: 1-line block ×3, first 2 shown]
	s_and_saveexec_b64 s[10:11], s[0:1]
	s_cbranch_execz .LBB0_471
; %bb.464:
	v_mov_b32_e32 v6, 0
	global_load_dwordx2 v[12:13], v6, s[2:3] offset:32 glc
	global_load_dwordx2 v[0:1], v6, s[2:3] offset:40
	v_mov_b32_e32 v10, s4
	v_mov_b32_e32 v11, s5
	s_waitcnt vmcnt(0)
	v_readfirstlane_b32 s12, v0
	v_readfirstlane_b32 s13, v1
	s_and_b64 s[12:13], s[12:13], s[4:5]
	s_mul_i32 s13, s13, 24
	s_mul_hi_u32 s14, s12, 24
	s_mul_i32 s12, s12, 24
	s_add_i32 s13, s14, s13
	v_mov_b32_e32 v0, s13
	v_add_co_u32_e32 v4, vcc, s12, v4
	v_addc_co_u32_e32 v5, vcc, v5, v0, vcc
	global_store_dwordx2 v[4:5], v[12:13], off
	s_waitcnt vmcnt(0)
	global_atomic_cmpswap_x2 v[2:3], v6, v[10:13], s[2:3] offset:32 glc
	s_waitcnt vmcnt(0)
	v_cmp_ne_u64_e32 vcc, v[2:3], v[12:13]
	s_and_saveexec_b64 s[12:13], vcc
	s_cbranch_execz .LBB0_467
; %bb.465:
	s_mov_b64 s[14:15], 0
.LBB0_466:                              ; =>This Inner Loop Header: Depth=1
	s_sleep 1
	global_store_dwordx2 v[4:5], v[2:3], off
	v_mov_b32_e32 v0, s4
	v_mov_b32_e32 v1, s5
	s_waitcnt vmcnt(0)
	global_atomic_cmpswap_x2 v[0:1], v6, v[0:3], s[2:3] offset:32 glc
	s_waitcnt vmcnt(0)
	v_cmp_eq_u64_e32 vcc, v[0:1], v[2:3]
	v_mov_b32_e32 v3, v1
	s_or_b64 s[14:15], vcc, s[14:15]
	v_mov_b32_e32 v2, v0
	s_andn2_b64 exec, exec, s[14:15]
	s_cbranch_execnz .LBB0_466
.LBB0_467:
	s_or_b64 exec, exec, s[12:13]
	v_mov_b32_e32 v3, 0
	global_load_dwordx2 v[0:1], v3, s[2:3] offset:16
	s_mov_b64 s[12:13], exec
	v_mbcnt_lo_u32_b32 v2, s12, 0
	v_mbcnt_hi_u32_b32 v2, s13, v2
	v_cmp_eq_u32_e32 vcc, 0, v2
	s_and_saveexec_b64 s[14:15], vcc
	s_cbranch_execz .LBB0_469
; %bb.468:
	s_bcnt1_i32_b64 s12, s[12:13]
	v_mov_b32_e32 v2, s12
	s_waitcnt vmcnt(0)
	global_atomic_add_x2 v[0:1], v[2:3], off offset:8
.LBB0_469:
	s_or_b64 exec, exec, s[14:15]
	s_waitcnt vmcnt(0)
	global_load_dwordx2 v[2:3], v[0:1], off offset:16
	s_waitcnt vmcnt(0)
	v_cmp_eq_u64_e32 vcc, 0, v[2:3]
	s_cbranch_vccnz .LBB0_471
; %bb.470:
	global_load_dword v0, v[0:1], off offset:24
	v_mov_b32_e32 v1, 0
	s_waitcnt vmcnt(0)
	v_readfirstlane_b32 s12, v0
	s_and_b32 m0, s12, 0xffffff
	global_store_dwordx2 v[2:3], v[0:1], off
	s_sendmsg sendmsg(MSG_INTERRUPT)
.LBB0_471:
	s_or_b64 exec, exec, s[10:11]
	s_branch .LBB0_475
.LBB0_472:                              ;   in Loop: Header=BB0_475 Depth=1
	s_or_b64 exec, exec, s[10:11]
	v_readfirstlane_b32 s10, v0
	s_cmp_eq_u32 s10, 0
	s_cbranch_scc1 .LBB0_474
; %bb.473:                              ;   in Loop: Header=BB0_475 Depth=1
	s_sleep 1
	s_cbranch_execnz .LBB0_475
	s_branch .LBB0_477
.LBB0_474:
	s_branch .LBB0_477
.LBB0_475:                              ; =>This Inner Loop Header: Depth=1
	v_mov_b32_e32 v0, 1
	s_and_saveexec_b64 s[10:11], s[0:1]
	s_cbranch_execz .LBB0_472
; %bb.476:                              ;   in Loop: Header=BB0_475 Depth=1
	global_load_dword v0, v[8:9], off offset:20 glc
	s_waitcnt vmcnt(0)
	buffer_wbinvl1_vol
	v_and_b32_e32 v0, 1, v0
	s_branch .LBB0_472
.LBB0_477:
	s_and_saveexec_b64 s[10:11], s[0:1]
	s_cbranch_execz .LBB0_480
; %bb.478:
	v_mov_b32_e32 v6, 0
	global_load_dwordx2 v[0:1], v6, s[2:3] offset:40
	global_load_dwordx2 v[9:10], v6, s[2:3] offset:24 glc
	global_load_dwordx2 v[2:3], v6, s[2:3]
	s_waitcnt vmcnt(2)
	v_readfirstlane_b32 s12, v0
	v_readfirstlane_b32 s13, v1
	s_add_u32 s14, s12, 1
	s_addc_u32 s15, s13, 0
	s_add_u32 s0, s14, s4
	s_addc_u32 s1, s15, s5
	s_cmp_eq_u64 s[0:1], 0
	s_cselect_b32 s1, s15, s1
	s_cselect_b32 s0, s14, s0
	s_and_b64 s[4:5], s[0:1], s[12:13]
	s_mul_i32 s5, s5, 24
	s_mul_hi_u32 s12, s4, 24
	s_mul_i32 s4, s4, 24
	s_add_i32 s5, s12, s5
	v_mov_b32_e32 v0, s5
	s_waitcnt vmcnt(0)
	v_add_co_u32_e32 v4, vcc, s4, v2
	v_addc_co_u32_e32 v5, vcc, v3, v0, vcc
	v_mov_b32_e32 v7, s0
	global_store_dwordx2 v[4:5], v[9:10], off
	v_mov_b32_e32 v8, s1
	s_waitcnt vmcnt(0)
	global_atomic_cmpswap_x2 v[2:3], v6, v[7:10], s[2:3] offset:24 glc
	s_mov_b64 s[4:5], 0
	s_waitcnt vmcnt(0)
	v_cmp_ne_u64_e32 vcc, v[2:3], v[9:10]
	s_and_b64 exec, exec, vcc
	s_cbranch_execz .LBB0_480
.LBB0_479:                              ; =>This Inner Loop Header: Depth=1
	s_sleep 1
	global_store_dwordx2 v[4:5], v[2:3], off
	v_mov_b32_e32 v0, s0
	v_mov_b32_e32 v1, s1
	s_waitcnt vmcnt(0)
	global_atomic_cmpswap_x2 v[0:1], v6, v[0:3], s[2:3] offset:24 glc
	s_waitcnt vmcnt(0)
	v_cmp_eq_u64_e32 vcc, v[0:1], v[2:3]
	v_mov_b32_e32 v3, v1
	s_or_b64 s[4:5], vcc, s[4:5]
	v_mov_b32_e32 v2, v0
	s_andn2_b64 exec, exec, s[4:5]
	s_cbranch_execnz .LBB0_479
.LBB0_480:
	s_or_b64 exec, exec, s[10:11]
	v_mov_b32_e32 v0, s8
	v_mov_b32_e32 v1, s9
	flat_load_dword v2, v[0:1] glc
	s_waitcnt vmcnt(0)
	v_mov_b32_e32 v3, 0
	v_readfirstlane_b32 s0, v33
	v_cmp_eq_u32_e64 s[0:1], s0, v33
	s_waitcnt lgkmcnt(0)
	v_add_u32_e32 v2, -1, v2
	flat_store_dword v[0:1], v2
	s_waitcnt vmcnt(0)
	flat_load_dword v5, v[0:1] glc
	s_waitcnt vmcnt(0)
	global_load_dword v2, v3, s[6:7]
	v_mov_b32_e32 v0, 0
	v_mov_b32_e32 v1, 0
	s_and_saveexec_b64 s[4:5], s[0:1]
	s_cbranch_execz .LBB0_486
; %bb.481:
	global_load_dwordx2 v[8:9], v3, s[2:3] offset:24 glc
	s_waitcnt vmcnt(0)
	buffer_wbinvl1_vol
	global_load_dwordx2 v[0:1], v3, s[2:3] offset:40
	global_load_dwordx2 v[6:7], v3, s[2:3]
	s_waitcnt vmcnt(0)
	v_and_b32_e32 v0, v0, v8
	v_and_b32_e32 v1, v1, v9
	v_mul_lo_u32 v1, v1, 24
	v_mul_hi_u32 v4, v0, 24
	v_mul_lo_u32 v0, v0, 24
	v_add_u32_e32 v1, v4, v1
	v_add_co_u32_e32 v0, vcc, v6, v0
	v_addc_co_u32_e32 v1, vcc, v7, v1, vcc
	global_load_dwordx2 v[6:7], v[0:1], off glc
	s_waitcnt vmcnt(0)
	global_atomic_cmpswap_x2 v[0:1], v3, v[6:9], s[2:3] offset:24 glc
	s_waitcnt vmcnt(0)
	buffer_wbinvl1_vol
	v_cmp_ne_u64_e32 vcc, v[0:1], v[8:9]
	s_and_saveexec_b64 s[6:7], vcc
	s_cbranch_execz .LBB0_485
; %bb.482:
	s_mov_b64 s[8:9], 0
	v_mov_b32_e32 v4, 0
.LBB0_483:                              ; =>This Inner Loop Header: Depth=1
	s_sleep 1
	global_load_dwordx2 v[6:7], v4, s[2:3] offset:40
	global_load_dwordx2 v[10:11], v4, s[2:3]
	v_mov_b32_e32 v9, v1
	v_mov_b32_e32 v8, v0
	s_waitcnt vmcnt(0)
	v_and_b32_e32 v0, v6, v8
	v_mad_u64_u32 v[0:1], s[10:11], v0, 24, v[10:11]
	v_and_b32_e32 v6, v7, v9
	v_mad_u64_u32 v[6:7], s[10:11], v6, 24, v[1:2]
	v_mov_b32_e32 v1, v6
	global_load_dwordx2 v[6:7], v[0:1], off glc
	s_waitcnt vmcnt(0)
	global_atomic_cmpswap_x2 v[0:1], v4, v[6:9], s[2:3] offset:24 glc
	s_waitcnt vmcnt(0)
	buffer_wbinvl1_vol
	v_cmp_eq_u64_e32 vcc, v[0:1], v[8:9]
	s_or_b64 s[8:9], vcc, s[8:9]
	s_andn2_b64 exec, exec, s[8:9]
	s_cbranch_execnz .LBB0_483
; %bb.484:
	s_or_b64 exec, exec, s[8:9]
.LBB0_485:
	s_or_b64 exec, exec, s[6:7]
.LBB0_486:
	s_or_b64 exec, exec, s[4:5]
	global_load_dwordx2 v[10:11], v3, s[2:3] offset:40
	global_load_dwordx4 v[6:9], v3, s[2:3]
	v_readfirstlane_b32 s5, v1
	v_readfirstlane_b32 s4, v0
	s_mov_b64 s[6:7], exec
	s_waitcnt vmcnt(0)
	v_readfirstlane_b32 s8, v10
	v_readfirstlane_b32 s9, v11
	s_and_b64 s[8:9], s[8:9], s[4:5]
	s_mul_i32 s10, s9, 24
	s_mul_hi_u32 s11, s8, 24
	s_mul_i32 s12, s8, 24
	s_add_i32 s10, s11, s10
	v_mov_b32_e32 v1, s10
	v_add_co_u32_e32 v0, vcc, s12, v6
	v_addc_co_u32_e32 v1, vcc, v7, v1, vcc
	s_and_saveexec_b64 s[10:11], s[0:1]
	s_cbranch_execz .LBB0_488
; %bb.487:
	v_mov_b32_e32 v11, s7
	v_mov_b32_e32 v10, s6
	;; [unrolled: 1-line block ×4, first 2 shown]
	global_store_dwordx4 v[0:1], v[10:13], off offset:8
.LBB0_488:
	s_or_b64 exec, exec, s[10:11]
	s_lshl_b64 s[6:7], s[8:9], 12
	v_mov_b32_e32 v3, s7
	v_add_co_u32_e32 v12, vcc, s6, v8
	v_addc_co_u32_e32 v13, vcc, v9, v3, vcc
	v_mov_b32_e32 v9, 0
	s_mov_b32 s8, 0
	v_add_co_u32_e32 v3, vcc, v12, v32
	v_mov_b32_e32 v8, 33
	v_mov_b32_e32 v10, v9
	;; [unrolled: 1-line block ×3, first 2 shown]
	v_readfirstlane_b32 s6, v12
	v_readfirstlane_b32 s7, v13
	s_mov_b32 s11, s8
	v_addc_co_u32_e32 v4, vcc, 0, v13, vcc
	s_mov_b32 s9, s8
	s_mov_b32 s10, s8
	s_nop 0
	global_store_dwordx4 v32, v[8:11], s[6:7]
	v_mov_b32_e32 v13, s11
	v_mov_b32_e32 v12, s10
	;; [unrolled: 1-line block ×4, first 2 shown]
	global_store_dwordx4 v32, v[10:13], s[6:7] offset:16
	global_store_dwordx4 v32, v[10:13], s[6:7] offset:32
	;; [unrolled: 1-line block ×3, first 2 shown]
	s_and_saveexec_b64 s[6:7], s[0:1]
	s_cbranch_execz .LBB0_496
; %bb.489:
	global_load_dwordx2 v[14:15], v9, s[2:3] offset:32 glc
	global_load_dwordx2 v[10:11], v9, s[2:3] offset:40
	v_mov_b32_e32 v12, s4
	v_mov_b32_e32 v13, s5
	s_waitcnt vmcnt(0)
	v_readfirstlane_b32 s8, v10
	v_readfirstlane_b32 s9, v11
	s_and_b64 s[8:9], s[8:9], s[4:5]
	s_mul_i32 s9, s9, 24
	s_mul_hi_u32 s10, s8, 24
	s_mul_i32 s8, s8, 24
	s_add_i32 s9, s10, s9
	v_mov_b32_e32 v8, s9
	v_add_co_u32_e32 v10, vcc, s8, v6
	v_addc_co_u32_e32 v11, vcc, v7, v8, vcc
	global_store_dwordx2 v[10:11], v[14:15], off
	s_waitcnt vmcnt(0)
	global_atomic_cmpswap_x2 v[8:9], v9, v[12:15], s[2:3] offset:32 glc
	s_waitcnt vmcnt(0)
	v_cmp_ne_u64_e32 vcc, v[8:9], v[14:15]
	s_and_saveexec_b64 s[8:9], vcc
	s_cbranch_execz .LBB0_492
; %bb.490:
	s_mov_b64 s[10:11], 0
	v_mov_b32_e32 v12, 0
.LBB0_491:                              ; =>This Inner Loop Header: Depth=1
	s_sleep 1
	global_store_dwordx2 v[10:11], v[8:9], off
	v_mov_b32_e32 v6, s4
	v_mov_b32_e32 v7, s5
	s_waitcnt vmcnt(0)
	global_atomic_cmpswap_x2 v[6:7], v12, v[6:9], s[2:3] offset:32 glc
	s_waitcnt vmcnt(0)
	v_cmp_eq_u64_e32 vcc, v[6:7], v[8:9]
	v_mov_b32_e32 v9, v7
	s_or_b64 s[10:11], vcc, s[10:11]
	v_mov_b32_e32 v8, v6
	s_andn2_b64 exec, exec, s[10:11]
	s_cbranch_execnz .LBB0_491
.LBB0_492:
	s_or_b64 exec, exec, s[8:9]
	v_mov_b32_e32 v9, 0
	global_load_dwordx2 v[6:7], v9, s[2:3] offset:16
	s_mov_b64 s[8:9], exec
	v_mbcnt_lo_u32_b32 v8, s8, 0
	v_mbcnt_hi_u32_b32 v8, s9, v8
	v_cmp_eq_u32_e32 vcc, 0, v8
	s_and_saveexec_b64 s[10:11], vcc
	s_cbranch_execz .LBB0_494
; %bb.493:
	s_bcnt1_i32_b64 s8, s[8:9]
	v_mov_b32_e32 v8, s8
	s_waitcnt vmcnt(0)
	global_atomic_add_x2 v[6:7], v[8:9], off offset:8
.LBB0_494:
	s_or_b64 exec, exec, s[10:11]
	s_waitcnt vmcnt(0)
	global_load_dwordx2 v[8:9], v[6:7], off offset:16
	s_waitcnt vmcnt(0)
	v_cmp_eq_u64_e32 vcc, 0, v[8:9]
	s_cbranch_vccnz .LBB0_496
; %bb.495:
	global_load_dword v6, v[6:7], off offset:24
	v_mov_b32_e32 v7, 0
	s_waitcnt vmcnt(0)
	v_readfirstlane_b32 s8, v6
	s_and_b32 m0, s8, 0xffffff
	global_store_dwordx2 v[8:9], v[6:7], off
	s_sendmsg sendmsg(MSG_INTERRUPT)
.LBB0_496:
	s_or_b64 exec, exec, s[6:7]
	s_branch .LBB0_500
.LBB0_497:                              ;   in Loop: Header=BB0_500 Depth=1
	s_or_b64 exec, exec, s[6:7]
	v_readfirstlane_b32 s6, v6
	s_cmp_eq_u32 s6, 0
	s_cbranch_scc1 .LBB0_499
; %bb.498:                              ;   in Loop: Header=BB0_500 Depth=1
	s_sleep 1
	s_cbranch_execnz .LBB0_500
	s_branch .LBB0_502
.LBB0_499:
	s_branch .LBB0_502
.LBB0_500:                              ; =>This Inner Loop Header: Depth=1
	v_mov_b32_e32 v6, 1
	s_and_saveexec_b64 s[6:7], s[0:1]
	s_cbranch_execz .LBB0_497
; %bb.501:                              ;   in Loop: Header=BB0_500 Depth=1
	global_load_dword v6, v[0:1], off offset:20 glc
	s_waitcnt vmcnt(0)
	buffer_wbinvl1_vol
	v_and_b32_e32 v6, 1, v6
	s_branch .LBB0_497
.LBB0_502:
	global_load_dwordx2 v[6:7], v[3:4], off
	s_and_saveexec_b64 s[6:7], s[0:1]
	s_cbranch_execz .LBB0_505
; %bb.503:
	v_mov_b32_e32 v3, 0
	global_load_dwordx2 v[0:1], v3, s[2:3] offset:40
	global_load_dwordx2 v[12:13], v3, s[2:3] offset:24 glc
	global_load_dwordx2 v[8:9], v3, s[2:3]
	s_waitcnt vmcnt(0)
	v_readfirstlane_b32 s8, v0
	v_readfirstlane_b32 s9, v1
	s_add_u32 s10, s8, 1
	s_addc_u32 s11, s9, 0
	s_add_u32 s0, s10, s4
	s_addc_u32 s1, s11, s5
	s_cmp_eq_u64 s[0:1], 0
	s_cselect_b32 s1, s11, s1
	s_cselect_b32 s0, s10, s0
	s_and_b64 s[4:5], s[0:1], s[8:9]
	s_mul_i32 s5, s5, 24
	s_mul_hi_u32 s8, s4, 24
	s_mul_i32 s4, s4, 24
	s_add_i32 s5, s8, s5
	v_mov_b32_e32 v1, s5
	v_add_co_u32_e32 v0, vcc, s4, v8
	v_addc_co_u32_e32 v1, vcc, v9, v1, vcc
	v_mov_b32_e32 v10, s0
	global_store_dwordx2 v[0:1], v[12:13], off
	v_mov_b32_e32 v11, s1
	s_waitcnt vmcnt(0)
	global_atomic_cmpswap_x2 v[10:11], v3, v[10:13], s[2:3] offset:24 glc
	s_mov_b64 s[4:5], 0
	s_waitcnt vmcnt(0)
	v_cmp_ne_u64_e32 vcc, v[10:11], v[12:13]
	s_and_b64 exec, exec, vcc
	s_cbranch_execz .LBB0_505
.LBB0_504:                              ; =>This Inner Loop Header: Depth=1
	s_sleep 1
	global_store_dwordx2 v[0:1], v[10:11], off
	v_mov_b32_e32 v8, s0
	v_mov_b32_e32 v9, s1
	s_waitcnt vmcnt(0)
	global_atomic_cmpswap_x2 v[8:9], v3, v[8:11], s[2:3] offset:24 glc
	s_waitcnt vmcnt(0)
	v_cmp_eq_u64_e32 vcc, v[8:9], v[10:11]
	v_mov_b32_e32 v11, v9
	s_or_b64 s[4:5], vcc, s[4:5]
	v_mov_b32_e32 v10, v8
	s_andn2_b64 exec, exec, s[4:5]
	s_cbranch_execnz .LBB0_504
.LBB0_505:
	s_or_b64 exec, exec, s[6:7]
	s_getpc_b64 s[4:5]
	s_add_u32 s4, s4, .str.2@rel32@lo+4
	s_addc_u32 s5, s5, .str.2@rel32@hi+12
	s_cmp_lg_u64 s[4:5], 0
	s_cbranch_scc0 .LBB0_591
; %bb.506:
	s_waitcnt vmcnt(0)
	v_and_b32_e32 v34, 2, v6
	v_mov_b32_e32 v1, 0
	v_and_b32_e32 v8, -3, v6
	v_mov_b32_e32 v9, v7
	s_mov_b64 s[6:7], 41
	v_mov_b32_e32 v14, 2
	v_mov_b32_e32 v15, 1
	s_branch .LBB0_508
.LBB0_507:                              ;   in Loop: Header=BB0_508 Depth=1
	s_or_b64 exec, exec, s[12:13]
	s_sub_u32 s6, s6, s8
	s_subb_u32 s7, s7, s9
	s_add_u32 s4, s4, s8
	s_addc_u32 s5, s5, s9
	s_cmp_lg_u64 s[6:7], 0
	s_cbranch_scc0 .LBB0_590
.LBB0_508:                              ; =>This Loop Header: Depth=1
                                        ;     Child Loop BB0_511 Depth 2
                                        ;     Child Loop BB0_519 Depth 2
	;; [unrolled: 1-line block ×11, first 2 shown]
	v_cmp_lt_u64_e64 s[0:1], s[6:7], 56
	v_cmp_gt_u64_e64 s[10:11], s[6:7], 7
	s_and_b64 s[0:1], s[0:1], exec
	s_cselect_b32 s9, s7, 0
	s_cselect_b32 s8, s6, 56
	s_add_u32 s0, s4, 8
	s_addc_u32 s1, s5, 0
	s_and_b64 vcc, exec, s[10:11]
	s_cbranch_vccnz .LBB0_512
; %bb.509:                              ;   in Loop: Header=BB0_508 Depth=1
	s_cmp_eq_u64 s[6:7], 0
	s_cbranch_scc1 .LBB0_513
; %bb.510:                              ;   in Loop: Header=BB0_508 Depth=1
	v_mov_b32_e32 v10, 0
	s_lshl_b64 s[0:1], s[8:9], 3
	s_mov_b64 s[10:11], 0
	v_mov_b32_e32 v11, 0
	s_mov_b64 s[12:13], s[4:5]
.LBB0_511:                              ;   Parent Loop BB0_508 Depth=1
                                        ; =>  This Inner Loop Header: Depth=2
	global_load_ubyte v0, v1, s[12:13]
	s_waitcnt vmcnt(0)
	v_and_b32_e32 v0, 0xffff, v0
	v_lshlrev_b64 v[3:4], s10, v[0:1]
	s_add_u32 s10, s10, 8
	s_addc_u32 s11, s11, 0
	s_add_u32 s12, s12, 1
	s_addc_u32 s13, s13, 0
	v_or_b32_e32 v10, v3, v10
	s_cmp_lg_u32 s0, s10
	v_or_b32_e32 v11, v4, v11
	s_cbranch_scc1 .LBB0_511
	s_branch .LBB0_514
.LBB0_512:                              ;   in Loop: Header=BB0_508 Depth=1
	s_mov_b32 s14, 0
	s_branch .LBB0_515
.LBB0_513:                              ;   in Loop: Header=BB0_508 Depth=1
	v_mov_b32_e32 v10, 0
	v_mov_b32_e32 v11, 0
.LBB0_514:                              ;   in Loop: Header=BB0_508 Depth=1
	s_mov_b64 s[0:1], s[4:5]
	s_mov_b32 s14, 0
	s_cbranch_execnz .LBB0_516
.LBB0_515:                              ;   in Loop: Header=BB0_508 Depth=1
	global_load_dwordx2 v[10:11], v1, s[4:5]
	s_add_i32 s14, s8, -8
.LBB0_516:                              ;   in Loop: Header=BB0_508 Depth=1
	s_add_u32 s10, s0, 8
	s_addc_u32 s11, s1, 0
	s_cmp_gt_u32 s14, 7
	s_cbranch_scc1 .LBB0_520
; %bb.517:                              ;   in Loop: Header=BB0_508 Depth=1
	s_cmp_eq_u32 s14, 0
	s_cbranch_scc1 .LBB0_521
; %bb.518:                              ;   in Loop: Header=BB0_508 Depth=1
	v_mov_b32_e32 v16, 0
	s_mov_b64 s[10:11], 0
	v_mov_b32_e32 v17, 0
	s_mov_b64 s[12:13], 0
.LBB0_519:                              ;   Parent Loop BB0_508 Depth=1
                                        ; =>  This Inner Loop Header: Depth=2
	s_add_u32 s16, s0, s12
	s_addc_u32 s17, s1, s13
	global_load_ubyte v0, v1, s[16:17]
	s_add_u32 s12, s12, 1
	s_addc_u32 s13, s13, 0
	s_waitcnt vmcnt(0)
	v_and_b32_e32 v0, 0xffff, v0
	v_lshlrev_b64 v[3:4], s10, v[0:1]
	s_add_u32 s10, s10, 8
	s_addc_u32 s11, s11, 0
	v_or_b32_e32 v16, v3, v16
	s_cmp_lg_u32 s14, s12
	v_or_b32_e32 v17, v4, v17
	s_cbranch_scc1 .LBB0_519
	s_branch .LBB0_522
.LBB0_520:                              ;   in Loop: Header=BB0_508 Depth=1
                                        ; implicit-def: $vgpr16_vgpr17
	s_mov_b32 s15, 0
	s_branch .LBB0_523
.LBB0_521:                              ;   in Loop: Header=BB0_508 Depth=1
	v_mov_b32_e32 v16, 0
	v_mov_b32_e32 v17, 0
.LBB0_522:                              ;   in Loop: Header=BB0_508 Depth=1
	s_mov_b64 s[10:11], s[0:1]
	s_mov_b32 s15, 0
	s_cbranch_execnz .LBB0_524
.LBB0_523:                              ;   in Loop: Header=BB0_508 Depth=1
	global_load_dwordx2 v[16:17], v1, s[0:1]
	s_add_i32 s15, s14, -8
.LBB0_524:                              ;   in Loop: Header=BB0_508 Depth=1
	s_add_u32 s0, s10, 8
	s_addc_u32 s1, s11, 0
	s_cmp_gt_u32 s15, 7
	s_cbranch_scc1 .LBB0_528
; %bb.525:                              ;   in Loop: Header=BB0_508 Depth=1
	s_cmp_eq_u32 s15, 0
	s_cbranch_scc1 .LBB0_529
; %bb.526:                              ;   in Loop: Header=BB0_508 Depth=1
	v_mov_b32_e32 v18, 0
	s_mov_b64 s[0:1], 0
	v_mov_b32_e32 v19, 0
	s_mov_b64 s[12:13], 0
.LBB0_527:                              ;   Parent Loop BB0_508 Depth=1
                                        ; =>  This Inner Loop Header: Depth=2
	s_add_u32 s16, s10, s12
	s_addc_u32 s17, s11, s13
	global_load_ubyte v0, v1, s[16:17]
	s_add_u32 s12, s12, 1
	s_addc_u32 s13, s13, 0
	s_waitcnt vmcnt(0)
	v_and_b32_e32 v0, 0xffff, v0
	v_lshlrev_b64 v[3:4], s0, v[0:1]
	s_add_u32 s0, s0, 8
	s_addc_u32 s1, s1, 0
	v_or_b32_e32 v18, v3, v18
	s_cmp_lg_u32 s15, s12
	v_or_b32_e32 v19, v4, v19
	s_cbranch_scc1 .LBB0_527
	s_branch .LBB0_530
.LBB0_528:                              ;   in Loop: Header=BB0_508 Depth=1
	s_mov_b32 s14, 0
	s_branch .LBB0_531
.LBB0_529:                              ;   in Loop: Header=BB0_508 Depth=1
	v_mov_b32_e32 v18, 0
	v_mov_b32_e32 v19, 0
.LBB0_530:                              ;   in Loop: Header=BB0_508 Depth=1
	s_mov_b64 s[0:1], s[10:11]
	s_mov_b32 s14, 0
	s_cbranch_execnz .LBB0_532
.LBB0_531:                              ;   in Loop: Header=BB0_508 Depth=1
	global_load_dwordx2 v[18:19], v1, s[10:11]
	s_add_i32 s14, s15, -8
.LBB0_532:                              ;   in Loop: Header=BB0_508 Depth=1
	s_add_u32 s10, s0, 8
	s_addc_u32 s11, s1, 0
	s_cmp_gt_u32 s14, 7
	s_cbranch_scc1 .LBB0_536
; %bb.533:                              ;   in Loop: Header=BB0_508 Depth=1
	s_cmp_eq_u32 s14, 0
	s_cbranch_scc1 .LBB0_537
; %bb.534:                              ;   in Loop: Header=BB0_508 Depth=1
	v_mov_b32_e32 v20, 0
	s_mov_b64 s[10:11], 0
	v_mov_b32_e32 v21, 0
	s_mov_b64 s[12:13], 0
.LBB0_535:                              ;   Parent Loop BB0_508 Depth=1
                                        ; =>  This Inner Loop Header: Depth=2
	s_add_u32 s16, s0, s12
	s_addc_u32 s17, s1, s13
	global_load_ubyte v0, v1, s[16:17]
	s_add_u32 s12, s12, 1
	s_addc_u32 s13, s13, 0
	s_waitcnt vmcnt(0)
	v_and_b32_e32 v0, 0xffff, v0
	v_lshlrev_b64 v[3:4], s10, v[0:1]
	s_add_u32 s10, s10, 8
	s_addc_u32 s11, s11, 0
	v_or_b32_e32 v20, v3, v20
	s_cmp_lg_u32 s14, s12
	v_or_b32_e32 v21, v4, v21
	s_cbranch_scc1 .LBB0_535
	s_branch .LBB0_538
.LBB0_536:                              ;   in Loop: Header=BB0_508 Depth=1
                                        ; implicit-def: $vgpr20_vgpr21
	s_mov_b32 s15, 0
	s_branch .LBB0_539
.LBB0_537:                              ;   in Loop: Header=BB0_508 Depth=1
	v_mov_b32_e32 v20, 0
	v_mov_b32_e32 v21, 0
.LBB0_538:                              ;   in Loop: Header=BB0_508 Depth=1
	s_mov_b64 s[10:11], s[0:1]
	s_mov_b32 s15, 0
	s_cbranch_execnz .LBB0_540
.LBB0_539:                              ;   in Loop: Header=BB0_508 Depth=1
	global_load_dwordx2 v[20:21], v1, s[0:1]
	s_add_i32 s15, s14, -8
.LBB0_540:                              ;   in Loop: Header=BB0_508 Depth=1
	s_add_u32 s0, s10, 8
	s_addc_u32 s1, s11, 0
	s_cmp_gt_u32 s15, 7
	s_cbranch_scc1 .LBB0_544
; %bb.541:                              ;   in Loop: Header=BB0_508 Depth=1
	s_cmp_eq_u32 s15, 0
	s_cbranch_scc1 .LBB0_545
; %bb.542:                              ;   in Loop: Header=BB0_508 Depth=1
	v_mov_b32_e32 v22, 0
	s_mov_b64 s[0:1], 0
	v_mov_b32_e32 v23, 0
	s_mov_b64 s[12:13], 0
.LBB0_543:                              ;   Parent Loop BB0_508 Depth=1
                                        ; =>  This Inner Loop Header: Depth=2
	s_add_u32 s16, s10, s12
	s_addc_u32 s17, s11, s13
	global_load_ubyte v0, v1, s[16:17]
	s_add_u32 s12, s12, 1
	s_addc_u32 s13, s13, 0
	s_waitcnt vmcnt(0)
	v_and_b32_e32 v0, 0xffff, v0
	v_lshlrev_b64 v[3:4], s0, v[0:1]
	s_add_u32 s0, s0, 8
	s_addc_u32 s1, s1, 0
	v_or_b32_e32 v22, v3, v22
	s_cmp_lg_u32 s15, s12
	v_or_b32_e32 v23, v4, v23
	s_cbranch_scc1 .LBB0_543
	s_branch .LBB0_546
.LBB0_544:                              ;   in Loop: Header=BB0_508 Depth=1
	s_mov_b32 s14, 0
	s_branch .LBB0_547
.LBB0_545:                              ;   in Loop: Header=BB0_508 Depth=1
	v_mov_b32_e32 v22, 0
	v_mov_b32_e32 v23, 0
.LBB0_546:                              ;   in Loop: Header=BB0_508 Depth=1
	s_mov_b64 s[0:1], s[10:11]
	s_mov_b32 s14, 0
	s_cbranch_execnz .LBB0_548
.LBB0_547:                              ;   in Loop: Header=BB0_508 Depth=1
	global_load_dwordx2 v[22:23], v1, s[10:11]
	s_add_i32 s14, s15, -8
.LBB0_548:                              ;   in Loop: Header=BB0_508 Depth=1
	s_add_u32 s10, s0, 8
	s_addc_u32 s11, s1, 0
	s_cmp_gt_u32 s14, 7
	s_cbranch_scc1 .LBB0_552
; %bb.549:                              ;   in Loop: Header=BB0_508 Depth=1
	s_cmp_eq_u32 s14, 0
	s_cbranch_scc1 .LBB0_553
; %bb.550:                              ;   in Loop: Header=BB0_508 Depth=1
	v_mov_b32_e32 v24, 0
	s_mov_b64 s[10:11], 0
	v_mov_b32_e32 v25, 0
	s_mov_b64 s[12:13], 0
.LBB0_551:                              ;   Parent Loop BB0_508 Depth=1
                                        ; =>  This Inner Loop Header: Depth=2
	s_add_u32 s16, s0, s12
	s_addc_u32 s17, s1, s13
	global_load_ubyte v0, v1, s[16:17]
	s_add_u32 s12, s12, 1
	s_addc_u32 s13, s13, 0
	s_waitcnt vmcnt(0)
	v_and_b32_e32 v0, 0xffff, v0
	v_lshlrev_b64 v[3:4], s10, v[0:1]
	s_add_u32 s10, s10, 8
	s_addc_u32 s11, s11, 0
	v_or_b32_e32 v24, v3, v24
	s_cmp_lg_u32 s14, s12
	v_or_b32_e32 v25, v4, v25
	s_cbranch_scc1 .LBB0_551
	s_branch .LBB0_554
.LBB0_552:                              ;   in Loop: Header=BB0_508 Depth=1
                                        ; implicit-def: $vgpr24_vgpr25
	s_mov_b32 s15, 0
	s_branch .LBB0_555
.LBB0_553:                              ;   in Loop: Header=BB0_508 Depth=1
	v_mov_b32_e32 v24, 0
	v_mov_b32_e32 v25, 0
.LBB0_554:                              ;   in Loop: Header=BB0_508 Depth=1
	s_mov_b64 s[10:11], s[0:1]
	s_mov_b32 s15, 0
	s_cbranch_execnz .LBB0_556
.LBB0_555:                              ;   in Loop: Header=BB0_508 Depth=1
	global_load_dwordx2 v[24:25], v1, s[0:1]
	s_add_i32 s15, s14, -8
.LBB0_556:                              ;   in Loop: Header=BB0_508 Depth=1
	s_cmp_gt_u32 s15, 7
	s_cbranch_scc1 .LBB0_560
; %bb.557:                              ;   in Loop: Header=BB0_508 Depth=1
	s_cmp_eq_u32 s15, 0
	s_cbranch_scc1 .LBB0_561
; %bb.558:                              ;   in Loop: Header=BB0_508 Depth=1
	v_mov_b32_e32 v26, 0
	s_mov_b64 s[0:1], 0
	v_mov_b32_e32 v27, 0
	s_mov_b64 s[12:13], s[10:11]
.LBB0_559:                              ;   Parent Loop BB0_508 Depth=1
                                        ; =>  This Inner Loop Header: Depth=2
	global_load_ubyte v0, v1, s[12:13]
	s_add_i32 s15, s15, -1
	s_waitcnt vmcnt(0)
	v_and_b32_e32 v0, 0xffff, v0
	v_lshlrev_b64 v[3:4], s0, v[0:1]
	s_add_u32 s0, s0, 8
	s_addc_u32 s1, s1, 0
	s_add_u32 s12, s12, 1
	s_addc_u32 s13, s13, 0
	v_or_b32_e32 v26, v3, v26
	s_cmp_lg_u32 s15, 0
	v_or_b32_e32 v27, v4, v27
	s_cbranch_scc1 .LBB0_559
	s_branch .LBB0_562
.LBB0_560:                              ;   in Loop: Header=BB0_508 Depth=1
	s_branch .LBB0_563
.LBB0_561:                              ;   in Loop: Header=BB0_508 Depth=1
	v_mov_b32_e32 v26, 0
	v_mov_b32_e32 v27, 0
.LBB0_562:                              ;   in Loop: Header=BB0_508 Depth=1
	s_cbranch_execnz .LBB0_564
.LBB0_563:                              ;   in Loop: Header=BB0_508 Depth=1
	global_load_dwordx2 v[26:27], v1, s[10:11]
.LBB0_564:                              ;   in Loop: Header=BB0_508 Depth=1
	v_readfirstlane_b32 s0, v33
	v_mov_b32_e32 v3, 0
	v_mov_b32_e32 v4, 0
	v_cmp_eq_u32_e64 s[0:1], s0, v33
	s_and_saveexec_b64 s[10:11], s[0:1]
	s_cbranch_execz .LBB0_570
; %bb.565:                              ;   in Loop: Header=BB0_508 Depth=1
	global_load_dwordx2 v[30:31], v1, s[2:3] offset:24 glc
	s_waitcnt vmcnt(0)
	buffer_wbinvl1_vol
	global_load_dwordx2 v[3:4], v1, s[2:3] offset:40
	global_load_dwordx2 v[12:13], v1, s[2:3]
	s_waitcnt vmcnt(0)
	v_and_b32_e32 v0, v3, v30
	v_and_b32_e32 v3, v4, v31
	v_mul_lo_u32 v3, v3, 24
	v_mul_hi_u32 v4, v0, 24
	v_mul_lo_u32 v0, v0, 24
	v_add_u32_e32 v4, v4, v3
	v_add_co_u32_e32 v3, vcc, v12, v0
	v_addc_co_u32_e32 v4, vcc, v13, v4, vcc
	global_load_dwordx2 v[28:29], v[3:4], off glc
	s_waitcnt vmcnt(0)
	global_atomic_cmpswap_x2 v[3:4], v1, v[28:31], s[2:3] offset:24 glc
	s_waitcnt vmcnt(0)
	buffer_wbinvl1_vol
	v_cmp_ne_u64_e32 vcc, v[3:4], v[30:31]
	s_and_saveexec_b64 s[12:13], vcc
	s_cbranch_execz .LBB0_569
; %bb.566:                              ;   in Loop: Header=BB0_508 Depth=1
	s_mov_b64 s[14:15], 0
.LBB0_567:                              ;   Parent Loop BB0_508 Depth=1
                                        ; =>  This Inner Loop Header: Depth=2
	s_sleep 1
	global_load_dwordx2 v[12:13], v1, s[2:3] offset:40
	global_load_dwordx2 v[28:29], v1, s[2:3]
	v_mov_b32_e32 v31, v4
	v_mov_b32_e32 v30, v3
	s_waitcnt vmcnt(0)
	v_and_b32_e32 v0, v12, v30
	v_mad_u64_u32 v[3:4], s[16:17], v0, 24, v[28:29]
	v_and_b32_e32 v12, v13, v31
	v_mov_b32_e32 v0, v4
	v_mad_u64_u32 v[12:13], s[16:17], v12, 24, v[0:1]
	v_mov_b32_e32 v4, v12
	global_load_dwordx2 v[28:29], v[3:4], off glc
	s_waitcnt vmcnt(0)
	global_atomic_cmpswap_x2 v[3:4], v1, v[28:31], s[2:3] offset:24 glc
	s_waitcnt vmcnt(0)
	buffer_wbinvl1_vol
	v_cmp_eq_u64_e32 vcc, v[3:4], v[30:31]
	s_or_b64 s[14:15], vcc, s[14:15]
	s_andn2_b64 exec, exec, s[14:15]
	s_cbranch_execnz .LBB0_567
; %bb.568:                              ;   in Loop: Header=BB0_508 Depth=1
	s_or_b64 exec, exec, s[14:15]
.LBB0_569:                              ;   in Loop: Header=BB0_508 Depth=1
	s_or_b64 exec, exec, s[12:13]
.LBB0_570:                              ;   in Loop: Header=BB0_508 Depth=1
	s_or_b64 exec, exec, s[10:11]
	global_load_dwordx2 v[12:13], v1, s[2:3] offset:40
	global_load_dwordx4 v[28:31], v1, s[2:3]
	v_readfirstlane_b32 s11, v4
	v_readfirstlane_b32 s10, v3
	s_mov_b64 s[12:13], exec
	s_waitcnt vmcnt(0)
	v_readfirstlane_b32 s14, v12
	v_readfirstlane_b32 s15, v13
	s_and_b64 s[14:15], s[14:15], s[10:11]
	s_mul_i32 s16, s15, 24
	s_mul_hi_u32 s17, s14, 24
	s_mul_i32 s18, s14, 24
	s_add_i32 s16, s17, s16
	v_mov_b32_e32 v0, s16
	v_add_co_u32_e32 v3, vcc, s18, v28
	v_addc_co_u32_e32 v4, vcc, v29, v0, vcc
	s_and_saveexec_b64 s[16:17], s[0:1]
	s_cbranch_execz .LBB0_572
; %bb.571:                              ;   in Loop: Header=BB0_508 Depth=1
	v_mov_b32_e32 v12, s12
	v_mov_b32_e32 v13, s13
	global_store_dwordx4 v[3:4], v[12:15], off offset:8
.LBB0_572:                              ;   in Loop: Header=BB0_508 Depth=1
	s_or_b64 exec, exec, s[16:17]
	s_lshl_b64 s[12:13], s[14:15], 12
	v_mov_b32_e32 v0, s13
	v_add_co_u32_e32 v30, vcc, s12, v30
	v_addc_co_u32_e32 v31, vcc, v31, v0, vcc
	v_cmp_lt_u64_e64 vcc, s[6:7], 57
	s_lshl_b32 s12, s8, 2
	v_cndmask_b32_e32 v0, 0, v34, vcc
	s_add_i32 s12, s12, 28
	v_and_b32_e32 v8, 0xffffff1f, v8
	s_and_b32 s12, s12, 0x1e0
	v_or_b32_e32 v0, v8, v0
	v_or_b32_e32 v8, s12, v0
	v_readfirstlane_b32 s12, v30
	v_readfirstlane_b32 s13, v31
	s_nop 4
	global_store_dwordx4 v32, v[8:11], s[12:13]
	global_store_dwordx4 v32, v[16:19], s[12:13] offset:16
	global_store_dwordx4 v32, v[20:23], s[12:13] offset:32
	global_store_dwordx4 v32, v[24:27], s[12:13] offset:48
	s_and_saveexec_b64 s[12:13], s[0:1]
	s_cbranch_execz .LBB0_580
; %bb.573:                              ;   in Loop: Header=BB0_508 Depth=1
	global_load_dwordx2 v[18:19], v1, s[2:3] offset:32 glc
	global_load_dwordx2 v[8:9], v1, s[2:3] offset:40
	v_mov_b32_e32 v16, s10
	v_mov_b32_e32 v17, s11
	s_waitcnt vmcnt(0)
	v_readfirstlane_b32 s14, v8
	v_readfirstlane_b32 s15, v9
	s_and_b64 s[14:15], s[14:15], s[10:11]
	s_mul_i32 s15, s15, 24
	s_mul_hi_u32 s16, s14, 24
	s_mul_i32 s14, s14, 24
	s_add_i32 s15, s16, s15
	v_mov_b32_e32 v0, s15
	v_add_co_u32_e32 v12, vcc, s14, v28
	v_addc_co_u32_e32 v13, vcc, v29, v0, vcc
	global_store_dwordx2 v[12:13], v[18:19], off
	s_waitcnt vmcnt(0)
	global_atomic_cmpswap_x2 v[10:11], v1, v[16:19], s[2:3] offset:32 glc
	s_waitcnt vmcnt(0)
	v_cmp_ne_u64_e32 vcc, v[10:11], v[18:19]
	s_and_saveexec_b64 s[14:15], vcc
	s_cbranch_execz .LBB0_576
; %bb.574:                              ;   in Loop: Header=BB0_508 Depth=1
	s_mov_b64 s[16:17], 0
.LBB0_575:                              ;   Parent Loop BB0_508 Depth=1
                                        ; =>  This Inner Loop Header: Depth=2
	s_sleep 1
	global_store_dwordx2 v[12:13], v[10:11], off
	v_mov_b32_e32 v8, s10
	v_mov_b32_e32 v9, s11
	s_waitcnt vmcnt(0)
	global_atomic_cmpswap_x2 v[8:9], v1, v[8:11], s[2:3] offset:32 glc
	s_waitcnt vmcnt(0)
	v_cmp_eq_u64_e32 vcc, v[8:9], v[10:11]
	v_mov_b32_e32 v11, v9
	s_or_b64 s[16:17], vcc, s[16:17]
	v_mov_b32_e32 v10, v8
	s_andn2_b64 exec, exec, s[16:17]
	s_cbranch_execnz .LBB0_575
.LBB0_576:                              ;   in Loop: Header=BB0_508 Depth=1
	s_or_b64 exec, exec, s[14:15]
	global_load_dwordx2 v[8:9], v1, s[2:3] offset:16
	s_mov_b64 s[16:17], exec
	v_mbcnt_lo_u32_b32 v0, s16, 0
	v_mbcnt_hi_u32_b32 v0, s17, v0
	v_cmp_eq_u32_e32 vcc, 0, v0
	s_and_saveexec_b64 s[14:15], vcc
	s_cbranch_execz .LBB0_578
; %bb.577:                              ;   in Loop: Header=BB0_508 Depth=1
	s_bcnt1_i32_b64 s16, s[16:17]
	v_mov_b32_e32 v0, s16
	s_waitcnt vmcnt(0)
	global_atomic_add_x2 v[8:9], v[0:1], off offset:8
.LBB0_578:                              ;   in Loop: Header=BB0_508 Depth=1
	s_or_b64 exec, exec, s[14:15]
	s_waitcnt vmcnt(0)
	global_load_dwordx2 v[10:11], v[8:9], off offset:16
	s_waitcnt vmcnt(0)
	v_cmp_eq_u64_e32 vcc, 0, v[10:11]
	s_cbranch_vccnz .LBB0_580
; %bb.579:                              ;   in Loop: Header=BB0_508 Depth=1
	global_load_dword v0, v[8:9], off offset:24
	s_waitcnt vmcnt(0)
	v_readfirstlane_b32 s14, v0
	s_and_b32 m0, s14, 0xffffff
	global_store_dwordx2 v[10:11], v[0:1], off
	s_sendmsg sendmsg(MSG_INTERRUPT)
.LBB0_580:                              ;   in Loop: Header=BB0_508 Depth=1
	s_or_b64 exec, exec, s[12:13]
	v_add_co_u32_e32 v8, vcc, v30, v32
	v_addc_co_u32_e32 v9, vcc, 0, v31, vcc
	s_branch .LBB0_584
.LBB0_581:                              ;   in Loop: Header=BB0_584 Depth=2
	s_or_b64 exec, exec, s[12:13]
	v_readfirstlane_b32 s12, v0
	s_cmp_eq_u32 s12, 0
	s_cbranch_scc1 .LBB0_583
; %bb.582:                              ;   in Loop: Header=BB0_584 Depth=2
	s_sleep 1
	s_cbranch_execnz .LBB0_584
	s_branch .LBB0_586
.LBB0_583:                              ;   in Loop: Header=BB0_508 Depth=1
	s_branch .LBB0_586
.LBB0_584:                              ;   Parent Loop BB0_508 Depth=1
                                        ; =>  This Inner Loop Header: Depth=2
	v_mov_b32_e32 v0, 1
	s_and_saveexec_b64 s[12:13], s[0:1]
	s_cbranch_execz .LBB0_581
; %bb.585:                              ;   in Loop: Header=BB0_584 Depth=2
	global_load_dword v0, v[3:4], off offset:20 glc
	s_waitcnt vmcnt(0)
	buffer_wbinvl1_vol
	v_and_b32_e32 v0, 1, v0
	s_branch .LBB0_581
.LBB0_586:                              ;   in Loop: Header=BB0_508 Depth=1
	global_load_dwordx2 v[8:9], v[8:9], off
	s_and_saveexec_b64 s[12:13], s[0:1]
	s_cbranch_execz .LBB0_507
; %bb.587:                              ;   in Loop: Header=BB0_508 Depth=1
	global_load_dwordx2 v[3:4], v1, s[2:3] offset:40
	global_load_dwordx2 v[18:19], v1, s[2:3] offset:24 glc
	global_load_dwordx2 v[10:11], v1, s[2:3]
	s_waitcnt vmcnt(0)
	v_readfirstlane_b32 s14, v3
	v_readfirstlane_b32 s15, v4
	s_add_u32 s16, s14, 1
	s_addc_u32 s17, s15, 0
	s_add_u32 s0, s16, s10
	s_addc_u32 s1, s17, s11
	s_cmp_eq_u64 s[0:1], 0
	s_cselect_b32 s1, s17, s1
	s_cselect_b32 s0, s16, s0
	s_and_b64 s[10:11], s[0:1], s[14:15]
	s_mul_i32 s11, s11, 24
	s_mul_hi_u32 s14, s10, 24
	s_mul_i32 s10, s10, 24
	s_add_i32 s11, s14, s11
	v_mov_b32_e32 v0, s11
	v_add_co_u32_e32 v3, vcc, s10, v10
	v_addc_co_u32_e32 v4, vcc, v11, v0, vcc
	v_mov_b32_e32 v16, s0
	global_store_dwordx2 v[3:4], v[18:19], off
	v_mov_b32_e32 v17, s1
	s_waitcnt vmcnt(0)
	global_atomic_cmpswap_x2 v[12:13], v1, v[16:19], s[2:3] offset:24 glc
	s_waitcnt vmcnt(0)
	v_cmp_ne_u64_e32 vcc, v[12:13], v[18:19]
	s_and_b64 exec, exec, vcc
	s_cbranch_execz .LBB0_507
; %bb.588:                              ;   in Loop: Header=BB0_508 Depth=1
	s_mov_b64 s[10:11], 0
.LBB0_589:                              ;   Parent Loop BB0_508 Depth=1
                                        ; =>  This Inner Loop Header: Depth=2
	s_sleep 1
	global_store_dwordx2 v[3:4], v[12:13], off
	v_mov_b32_e32 v10, s0
	v_mov_b32_e32 v11, s1
	s_waitcnt vmcnt(0)
	global_atomic_cmpswap_x2 v[10:11], v1, v[10:13], s[2:3] offset:24 glc
	s_waitcnt vmcnt(0)
	v_cmp_eq_u64_e32 vcc, v[10:11], v[12:13]
	v_mov_b32_e32 v13, v11
	s_or_b64 s[10:11], vcc, s[10:11]
	v_mov_b32_e32 v12, v10
	s_andn2_b64 exec, exec, s[10:11]
	s_cbranch_execnz .LBB0_589
	s_branch .LBB0_507
.LBB0_590:
	s_branch .LBB0_618
.LBB0_591:
                                        ; implicit-def: $vgpr8_vgpr9
	s_cbranch_execz .LBB0_618
; %bb.592:
	v_readfirstlane_b32 s0, v33
	v_mov_b32_e32 v0, 0
	v_mov_b32_e32 v1, 0
	v_cmp_eq_u32_e64 s[0:1], s0, v33
	s_and_saveexec_b64 s[4:5], s[0:1]
	s_cbranch_execz .LBB0_598
; %bb.593:
	v_mov_b32_e32 v3, 0
	global_load_dwordx2 v[10:11], v3, s[2:3] offset:24 glc
	s_waitcnt vmcnt(0)
	buffer_wbinvl1_vol
	global_load_dwordx2 v[0:1], v3, s[2:3] offset:40
	global_load_dwordx2 v[8:9], v3, s[2:3]
	s_waitcnt vmcnt(0)
	v_and_b32_e32 v0, v0, v10
	v_and_b32_e32 v1, v1, v11
	v_mul_lo_u32 v1, v1, 24
	v_mul_hi_u32 v4, v0, 24
	v_mul_lo_u32 v0, v0, 24
	v_add_u32_e32 v1, v4, v1
	v_add_co_u32_e32 v0, vcc, v8, v0
	v_addc_co_u32_e32 v1, vcc, v9, v1, vcc
	global_load_dwordx2 v[8:9], v[0:1], off glc
	s_waitcnt vmcnt(0)
	global_atomic_cmpswap_x2 v[0:1], v3, v[8:11], s[2:3] offset:24 glc
	s_waitcnt vmcnt(0)
	buffer_wbinvl1_vol
	v_cmp_ne_u64_e32 vcc, v[0:1], v[10:11]
	s_and_saveexec_b64 s[6:7], vcc
	s_cbranch_execz .LBB0_597
; %bb.594:
	s_mov_b64 s[8:9], 0
.LBB0_595:                              ; =>This Inner Loop Header: Depth=1
	s_sleep 1
	global_load_dwordx2 v[8:9], v3, s[2:3] offset:40
	global_load_dwordx2 v[12:13], v3, s[2:3]
	v_mov_b32_e32 v11, v1
	v_mov_b32_e32 v10, v0
	s_waitcnt vmcnt(0)
	v_and_b32_e32 v0, v8, v10
	v_mad_u64_u32 v[0:1], s[10:11], v0, 24, v[12:13]
	v_and_b32_e32 v4, v9, v11
	v_mad_u64_u32 v[8:9], s[10:11], v4, 24, v[1:2]
	v_mov_b32_e32 v1, v8
	global_load_dwordx2 v[8:9], v[0:1], off glc
	s_waitcnt vmcnt(0)
	global_atomic_cmpswap_x2 v[0:1], v3, v[8:11], s[2:3] offset:24 glc
	s_waitcnt vmcnt(0)
	buffer_wbinvl1_vol
	v_cmp_eq_u64_e32 vcc, v[0:1], v[10:11]
	s_or_b64 s[8:9], vcc, s[8:9]
	s_andn2_b64 exec, exec, s[8:9]
	s_cbranch_execnz .LBB0_595
; %bb.596:
	s_or_b64 exec, exec, s[8:9]
.LBB0_597:
	s_or_b64 exec, exec, s[6:7]
.LBB0_598:
	s_or_b64 exec, exec, s[4:5]
	s_waitcnt vmcnt(0)
	v_mov_b32_e32 v8, 0
	global_load_dwordx2 v[3:4], v8, s[2:3] offset:40
	global_load_dwordx4 v[10:13], v8, s[2:3]
	v_readfirstlane_b32 s5, v1
	v_readfirstlane_b32 s4, v0
	s_mov_b64 s[6:7], exec
	s_waitcnt vmcnt(0)
	v_readfirstlane_b32 s8, v3
	v_readfirstlane_b32 s9, v4
	s_and_b64 s[8:9], s[8:9], s[4:5]
	s_mul_i32 s10, s9, 24
	s_mul_hi_u32 s11, s8, 24
	s_mul_i32 s12, s8, 24
	s_add_i32 s10, s11, s10
	v_mov_b32_e32 v1, s10
	v_add_co_u32_e32 v0, vcc, s12, v10
	v_addc_co_u32_e32 v1, vcc, v11, v1, vcc
	s_and_saveexec_b64 s[10:11], s[0:1]
	s_cbranch_execz .LBB0_600
; %bb.599:
	v_mov_b32_e32 v15, s7
	v_mov_b32_e32 v14, s6
	;; [unrolled: 1-line block ×4, first 2 shown]
	global_store_dwordx4 v[0:1], v[14:17], off offset:8
.LBB0_600:
	s_or_b64 exec, exec, s[10:11]
	s_lshl_b64 s[6:7], s[8:9], 12
	v_mov_b32_e32 v3, s7
	v_add_co_u32_e32 v12, vcc, s6, v12
	v_addc_co_u32_e32 v13, vcc, v13, v3, vcc
	s_movk_i32 s6, 0xff1f
	v_and_or_b32 v6, v6, s6, 32
	s_mov_b32 s8, 0
	v_mov_b32_e32 v9, v8
	v_readfirstlane_b32 s6, v12
	v_readfirstlane_b32 s7, v13
	v_add_co_u32_e32 v3, vcc, v12, v32
	s_mov_b32 s9, s8
	s_mov_b32 s10, s8
	;; [unrolled: 1-line block ×3, first 2 shown]
	s_nop 0
	global_store_dwordx4 v32, v[6:9], s[6:7]
	v_addc_co_u32_e32 v4, vcc, 0, v13, vcc
	v_mov_b32_e32 v6, s8
	v_mov_b32_e32 v7, s9
	;; [unrolled: 1-line block ×4, first 2 shown]
	global_store_dwordx4 v32, v[6:9], s[6:7] offset:16
	global_store_dwordx4 v32, v[6:9], s[6:7] offset:32
	;; [unrolled: 1-line block ×3, first 2 shown]
	s_and_saveexec_b64 s[6:7], s[0:1]
	s_cbranch_execz .LBB0_608
; %bb.601:
	v_mov_b32_e32 v12, 0
	global_load_dwordx2 v[15:16], v12, s[2:3] offset:32 glc
	global_load_dwordx2 v[6:7], v12, s[2:3] offset:40
	v_mov_b32_e32 v13, s4
	v_mov_b32_e32 v14, s5
	s_waitcnt vmcnt(0)
	v_readfirstlane_b32 s8, v6
	v_readfirstlane_b32 s9, v7
	s_and_b64 s[8:9], s[8:9], s[4:5]
	s_mul_i32 s9, s9, 24
	s_mul_hi_u32 s10, s8, 24
	s_mul_i32 s8, s8, 24
	s_add_i32 s9, s10, s9
	v_mov_b32_e32 v6, s9
	v_add_co_u32_e32 v10, vcc, s8, v10
	v_addc_co_u32_e32 v11, vcc, v11, v6, vcc
	global_store_dwordx2 v[10:11], v[15:16], off
	s_waitcnt vmcnt(0)
	global_atomic_cmpswap_x2 v[8:9], v12, v[13:16], s[2:3] offset:32 glc
	s_waitcnt vmcnt(0)
	v_cmp_ne_u64_e32 vcc, v[8:9], v[15:16]
	s_and_saveexec_b64 s[8:9], vcc
	s_cbranch_execz .LBB0_604
; %bb.602:
	s_mov_b64 s[10:11], 0
.LBB0_603:                              ; =>This Inner Loop Header: Depth=1
	s_sleep 1
	global_store_dwordx2 v[10:11], v[8:9], off
	v_mov_b32_e32 v6, s4
	v_mov_b32_e32 v7, s5
	s_waitcnt vmcnt(0)
	global_atomic_cmpswap_x2 v[6:7], v12, v[6:9], s[2:3] offset:32 glc
	s_waitcnt vmcnt(0)
	v_cmp_eq_u64_e32 vcc, v[6:7], v[8:9]
	v_mov_b32_e32 v9, v7
	s_or_b64 s[10:11], vcc, s[10:11]
	v_mov_b32_e32 v8, v6
	s_andn2_b64 exec, exec, s[10:11]
	s_cbranch_execnz .LBB0_603
.LBB0_604:
	s_or_b64 exec, exec, s[8:9]
	v_mov_b32_e32 v9, 0
	global_load_dwordx2 v[6:7], v9, s[2:3] offset:16
	s_mov_b64 s[8:9], exec
	v_mbcnt_lo_u32_b32 v8, s8, 0
	v_mbcnt_hi_u32_b32 v8, s9, v8
	v_cmp_eq_u32_e32 vcc, 0, v8
	s_and_saveexec_b64 s[10:11], vcc
	s_cbranch_execz .LBB0_606
; %bb.605:
	s_bcnt1_i32_b64 s8, s[8:9]
	v_mov_b32_e32 v8, s8
	s_waitcnt vmcnt(0)
	global_atomic_add_x2 v[6:7], v[8:9], off offset:8
.LBB0_606:
	s_or_b64 exec, exec, s[10:11]
	s_waitcnt vmcnt(0)
	global_load_dwordx2 v[8:9], v[6:7], off offset:16
	s_waitcnt vmcnt(0)
	v_cmp_eq_u64_e32 vcc, 0, v[8:9]
	s_cbranch_vccnz .LBB0_608
; %bb.607:
	global_load_dword v6, v[6:7], off offset:24
	v_mov_b32_e32 v7, 0
	s_waitcnt vmcnt(0)
	v_readfirstlane_b32 s8, v6
	s_and_b32 m0, s8, 0xffffff
	global_store_dwordx2 v[8:9], v[6:7], off
	s_sendmsg sendmsg(MSG_INTERRUPT)
.LBB0_608:
	s_or_b64 exec, exec, s[6:7]
	s_branch .LBB0_612
.LBB0_609:                              ;   in Loop: Header=BB0_612 Depth=1
	s_or_b64 exec, exec, s[6:7]
	v_readfirstlane_b32 s6, v6
	s_cmp_eq_u32 s6, 0
	s_cbranch_scc1 .LBB0_611
; %bb.610:                              ;   in Loop: Header=BB0_612 Depth=1
	s_sleep 1
	s_cbranch_execnz .LBB0_612
	s_branch .LBB0_614
.LBB0_611:
	s_branch .LBB0_614
.LBB0_612:                              ; =>This Inner Loop Header: Depth=1
	v_mov_b32_e32 v6, 1
	s_and_saveexec_b64 s[6:7], s[0:1]
	s_cbranch_execz .LBB0_609
; %bb.613:                              ;   in Loop: Header=BB0_612 Depth=1
	global_load_dword v6, v[0:1], off offset:20 glc
	s_waitcnt vmcnt(0)
	buffer_wbinvl1_vol
	v_and_b32_e32 v6, 1, v6
	s_branch .LBB0_609
.LBB0_614:
	global_load_dwordx2 v[8:9], v[3:4], off
	s_and_saveexec_b64 s[6:7], s[0:1]
	s_cbranch_execz .LBB0_617
; %bb.615:
	v_mov_b32_e32 v3, 0
	global_load_dwordx2 v[0:1], v3, s[2:3] offset:40
	global_load_dwordx2 v[14:15], v3, s[2:3] offset:24 glc
	global_load_dwordx2 v[6:7], v3, s[2:3]
	s_waitcnt vmcnt(0)
	v_readfirstlane_b32 s8, v0
	v_readfirstlane_b32 s9, v1
	s_add_u32 s10, s8, 1
	s_addc_u32 s11, s9, 0
	s_add_u32 s0, s10, s4
	s_addc_u32 s1, s11, s5
	s_cmp_eq_u64 s[0:1], 0
	s_cselect_b32 s1, s11, s1
	s_cselect_b32 s0, s10, s0
	s_and_b64 s[4:5], s[0:1], s[8:9]
	s_mul_i32 s5, s5, 24
	s_mul_hi_u32 s8, s4, 24
	s_mul_i32 s4, s4, 24
	s_add_i32 s5, s8, s5
	v_mov_b32_e32 v1, s5
	v_add_co_u32_e32 v0, vcc, s4, v6
	v_addc_co_u32_e32 v1, vcc, v7, v1, vcc
	v_mov_b32_e32 v12, s0
	global_store_dwordx2 v[0:1], v[14:15], off
	v_mov_b32_e32 v13, s1
	s_waitcnt vmcnt(0)
	global_atomic_cmpswap_x2 v[12:13], v3, v[12:15], s[2:3] offset:24 glc
	s_mov_b64 s[4:5], 0
	s_waitcnt vmcnt(0)
	v_cmp_ne_u64_e32 vcc, v[12:13], v[14:15]
	s_and_b64 exec, exec, vcc
	s_cbranch_execz .LBB0_617
.LBB0_616:                              ; =>This Inner Loop Header: Depth=1
	s_sleep 1
	global_store_dwordx2 v[0:1], v[12:13], off
	v_mov_b32_e32 v10, s0
	v_mov_b32_e32 v11, s1
	s_waitcnt vmcnt(0)
	global_atomic_cmpswap_x2 v[6:7], v3, v[10:13], s[2:3] offset:24 glc
	s_waitcnt vmcnt(0)
	v_cmp_eq_u64_e32 vcc, v[6:7], v[12:13]
	v_mov_b32_e32 v13, v7
	s_or_b64 s[4:5], vcc, s[4:5]
	v_mov_b32_e32 v12, v6
	s_andn2_b64 exec, exec, s[4:5]
	s_cbranch_execnz .LBB0_616
.LBB0_617:
	s_or_b64 exec, exec, s[6:7]
.LBB0_618:
	v_readfirstlane_b32 s0, v33
	v_mov_b32_e32 v0, 0
	v_mov_b32_e32 v1, 0
	v_cmp_eq_u32_e64 s[0:1], s0, v33
	s_and_saveexec_b64 s[4:5], s[0:1]
	s_cbranch_execz .LBB0_624
; %bb.619:
	v_mov_b32_e32 v3, 0
	global_load_dwordx2 v[12:13], v3, s[2:3] offset:24 glc
	s_waitcnt vmcnt(0)
	buffer_wbinvl1_vol
	global_load_dwordx2 v[0:1], v3, s[2:3] offset:40
	global_load_dwordx2 v[6:7], v3, s[2:3]
	s_waitcnt vmcnt(0)
	v_and_b32_e32 v0, v0, v12
	v_and_b32_e32 v1, v1, v13
	v_mul_lo_u32 v1, v1, 24
	v_mul_hi_u32 v4, v0, 24
	v_mul_lo_u32 v0, v0, 24
	v_add_u32_e32 v1, v4, v1
	v_add_co_u32_e32 v0, vcc, v6, v0
	v_addc_co_u32_e32 v1, vcc, v7, v1, vcc
	global_load_dwordx2 v[10:11], v[0:1], off glc
	s_waitcnt vmcnt(0)
	global_atomic_cmpswap_x2 v[0:1], v3, v[10:13], s[2:3] offset:24 glc
	s_waitcnt vmcnt(0)
	buffer_wbinvl1_vol
	v_cmp_ne_u64_e32 vcc, v[0:1], v[12:13]
	s_and_saveexec_b64 s[6:7], vcc
	s_cbranch_execz .LBB0_623
; %bb.620:
	s_mov_b64 s[8:9], 0
.LBB0_621:                              ; =>This Inner Loop Header: Depth=1
	s_sleep 1
	global_load_dwordx2 v[6:7], v3, s[2:3] offset:40
	global_load_dwordx2 v[10:11], v3, s[2:3]
	v_mov_b32_e32 v13, v1
	v_mov_b32_e32 v12, v0
	s_waitcnt vmcnt(0)
	v_and_b32_e32 v0, v6, v12
	v_mad_u64_u32 v[0:1], s[10:11], v0, 24, v[10:11]
	v_and_b32_e32 v4, v7, v13
	v_mad_u64_u32 v[6:7], s[10:11], v4, 24, v[1:2]
	v_mov_b32_e32 v1, v6
	global_load_dwordx2 v[10:11], v[0:1], off glc
	s_waitcnt vmcnt(0)
	global_atomic_cmpswap_x2 v[0:1], v3, v[10:13], s[2:3] offset:24 glc
	s_waitcnt vmcnt(0)
	buffer_wbinvl1_vol
	v_cmp_eq_u64_e32 vcc, v[0:1], v[12:13]
	s_or_b64 s[8:9], vcc, s[8:9]
	s_andn2_b64 exec, exec, s[8:9]
	s_cbranch_execnz .LBB0_621
; %bb.622:
	s_or_b64 exec, exec, s[8:9]
.LBB0_623:
	s_or_b64 exec, exec, s[6:7]
.LBB0_624:
	s_or_b64 exec, exec, s[4:5]
	v_mov_b32_e32 v11, 0
	global_load_dwordx2 v[3:4], v11, s[2:3] offset:40
	global_load_dwordx4 v[12:15], v11, s[2:3]
	v_readfirstlane_b32 s5, v1
	v_readfirstlane_b32 s4, v0
	s_mov_b64 s[6:7], exec
	s_waitcnt vmcnt(0)
	v_readfirstlane_b32 s8, v3
	v_readfirstlane_b32 s9, v4
	s_and_b64 s[8:9], s[8:9], s[4:5]
	s_mul_i32 s10, s9, 24
	s_mul_hi_u32 s11, s8, 24
	s_mul_i32 s12, s8, 24
	s_add_i32 s10, s11, s10
	v_mov_b32_e32 v1, s10
	v_add_co_u32_e32 v0, vcc, s12, v12
	v_addc_co_u32_e32 v1, vcc, v13, v1, vcc
	s_and_saveexec_b64 s[10:11], s[0:1]
	s_cbranch_execz .LBB0_626
; %bb.625:
	v_mov_b32_e32 v17, s7
	v_mov_b32_e32 v16, s6
	v_mov_b32_e32 v18, 2
	v_mov_b32_e32 v19, 1
	global_store_dwordx4 v[0:1], v[16:19], off offset:8
.LBB0_626:
	s_or_b64 exec, exec, s[10:11]
	s_lshl_b64 s[6:7], s[8:9], 12
	v_mov_b32_e32 v3, s7
	v_add_co_u32_e32 v6, vcc, s6, v14
	v_addc_co_u32_e32 v7, vcc, v15, v3, vcc
	s_movk_i32 s6, 0xff1f
	v_and_or_b32 v8, v8, s6, 32
	v_add_co_u32_e32 v3, vcc, v6, v32
	v_mov_b32_e32 v10, s22
	v_readfirstlane_b32 s6, v6
	v_readfirstlane_b32 s7, v7
	s_mov_b32 s8, 0
	v_addc_co_u32_e32 v4, vcc, 0, v7, vcc
	s_mov_b32 s9, s8
	s_mov_b32 s10, s8
	s_nop 0
	global_store_dwordx4 v32, v[8:11], s[6:7]
	s_mov_b32 s11, s8
	v_mov_b32_e32 v6, s8
	v_mov_b32_e32 v7, s9
	;; [unrolled: 1-line block ×4, first 2 shown]
	global_store_dwordx4 v32, v[6:9], s[6:7] offset:16
	global_store_dwordx4 v32, v[6:9], s[6:7] offset:32
	;; [unrolled: 1-line block ×3, first 2 shown]
	s_and_saveexec_b64 s[6:7], s[0:1]
	s_cbranch_execz .LBB0_634
; %bb.627:
	v_mov_b32_e32 v14, 0
	global_load_dwordx2 v[17:18], v14, s[2:3] offset:32 glc
	global_load_dwordx2 v[6:7], v14, s[2:3] offset:40
	v_mov_b32_e32 v15, s4
	v_mov_b32_e32 v16, s5
	s_waitcnt vmcnt(0)
	v_readfirstlane_b32 s8, v6
	v_readfirstlane_b32 s9, v7
	s_and_b64 s[8:9], s[8:9], s[4:5]
	s_mul_i32 s9, s9, 24
	s_mul_hi_u32 s10, s8, 24
	s_mul_i32 s8, s8, 24
	s_add_i32 s9, s10, s9
	v_mov_b32_e32 v6, s9
	v_add_co_u32_e32 v10, vcc, s8, v12
	v_addc_co_u32_e32 v11, vcc, v13, v6, vcc
	global_store_dwordx2 v[10:11], v[17:18], off
	s_waitcnt vmcnt(0)
	global_atomic_cmpswap_x2 v[8:9], v14, v[15:18], s[2:3] offset:32 glc
	s_waitcnt vmcnt(0)
	v_cmp_ne_u64_e32 vcc, v[8:9], v[17:18]
	s_and_saveexec_b64 s[8:9], vcc
	s_cbranch_execz .LBB0_630
; %bb.628:
	s_mov_b64 s[10:11], 0
.LBB0_629:                              ; =>This Inner Loop Header: Depth=1
	s_sleep 1
	global_store_dwordx2 v[10:11], v[8:9], off
	v_mov_b32_e32 v6, s4
	v_mov_b32_e32 v7, s5
	s_waitcnt vmcnt(0)
	global_atomic_cmpswap_x2 v[6:7], v14, v[6:9], s[2:3] offset:32 glc
	s_waitcnt vmcnt(0)
	v_cmp_eq_u64_e32 vcc, v[6:7], v[8:9]
	v_mov_b32_e32 v9, v7
	s_or_b64 s[10:11], vcc, s[10:11]
	v_mov_b32_e32 v8, v6
	s_andn2_b64 exec, exec, s[10:11]
	s_cbranch_execnz .LBB0_629
.LBB0_630:
	s_or_b64 exec, exec, s[8:9]
	v_mov_b32_e32 v9, 0
	global_load_dwordx2 v[6:7], v9, s[2:3] offset:16
	s_mov_b64 s[8:9], exec
	v_mbcnt_lo_u32_b32 v8, s8, 0
	v_mbcnt_hi_u32_b32 v8, s9, v8
	v_cmp_eq_u32_e32 vcc, 0, v8
	s_and_saveexec_b64 s[10:11], vcc
	s_cbranch_execz .LBB0_632
; %bb.631:
	s_bcnt1_i32_b64 s8, s[8:9]
	v_mov_b32_e32 v8, s8
	s_waitcnt vmcnt(0)
	global_atomic_add_x2 v[6:7], v[8:9], off offset:8
.LBB0_632:
	s_or_b64 exec, exec, s[10:11]
	s_waitcnt vmcnt(0)
	global_load_dwordx2 v[8:9], v[6:7], off offset:16
	s_waitcnt vmcnt(0)
	v_cmp_eq_u64_e32 vcc, 0, v[8:9]
	s_cbranch_vccnz .LBB0_634
; %bb.633:
	global_load_dword v6, v[6:7], off offset:24
	v_mov_b32_e32 v7, 0
	s_waitcnt vmcnt(0)
	v_readfirstlane_b32 s8, v6
	s_and_b32 m0, s8, 0xffffff
	global_store_dwordx2 v[8:9], v[6:7], off
	s_sendmsg sendmsg(MSG_INTERRUPT)
.LBB0_634:
	s_or_b64 exec, exec, s[6:7]
	s_branch .LBB0_638
.LBB0_635:                              ;   in Loop: Header=BB0_638 Depth=1
	s_or_b64 exec, exec, s[6:7]
	v_readfirstlane_b32 s6, v6
	s_cmp_eq_u32 s6, 0
	s_cbranch_scc1 .LBB0_637
; %bb.636:                              ;   in Loop: Header=BB0_638 Depth=1
	s_sleep 1
	s_cbranch_execnz .LBB0_638
	s_branch .LBB0_640
.LBB0_637:
	s_branch .LBB0_640
.LBB0_638:                              ; =>This Inner Loop Header: Depth=1
	v_mov_b32_e32 v6, 1
	s_and_saveexec_b64 s[6:7], s[0:1]
	s_cbranch_execz .LBB0_635
; %bb.639:                              ;   in Loop: Header=BB0_638 Depth=1
	global_load_dword v6, v[0:1], off offset:20 glc
	s_waitcnt vmcnt(0)
	buffer_wbinvl1_vol
	v_and_b32_e32 v6, 1, v6
	s_branch .LBB0_635
.LBB0_640:
	global_load_dwordx2 v[6:7], v[3:4], off
	s_and_saveexec_b64 s[6:7], s[0:1]
	s_cbranch_execz .LBB0_643
; %bb.641:
	v_mov_b32_e32 v3, 0
	global_load_dwordx2 v[0:1], v3, s[2:3] offset:40
	global_load_dwordx2 v[12:13], v3, s[2:3] offset:24 glc
	global_load_dwordx2 v[8:9], v3, s[2:3]
	s_waitcnt vmcnt(0)
	v_readfirstlane_b32 s8, v0
	v_readfirstlane_b32 s9, v1
	s_add_u32 s10, s8, 1
	s_addc_u32 s11, s9, 0
	s_add_u32 s0, s10, s4
	s_addc_u32 s1, s11, s5
	s_cmp_eq_u64 s[0:1], 0
	s_cselect_b32 s1, s11, s1
	s_cselect_b32 s0, s10, s0
	s_and_b64 s[4:5], s[0:1], s[8:9]
	s_mul_i32 s5, s5, 24
	s_mul_hi_u32 s8, s4, 24
	s_mul_i32 s4, s4, 24
	s_add_i32 s5, s8, s5
	v_mov_b32_e32 v1, s5
	v_add_co_u32_e32 v0, vcc, s4, v8
	v_addc_co_u32_e32 v1, vcc, v9, v1, vcc
	v_mov_b32_e32 v10, s0
	global_store_dwordx2 v[0:1], v[12:13], off
	v_mov_b32_e32 v11, s1
	s_waitcnt vmcnt(0)
	global_atomic_cmpswap_x2 v[10:11], v3, v[10:13], s[2:3] offset:24 glc
	s_mov_b64 s[4:5], 0
	s_waitcnt vmcnt(0)
	v_cmp_ne_u64_e32 vcc, v[10:11], v[12:13]
	s_and_b64 exec, exec, vcc
	s_cbranch_execz .LBB0_643
.LBB0_642:                              ; =>This Inner Loop Header: Depth=1
	s_sleep 1
	global_store_dwordx2 v[0:1], v[10:11], off
	v_mov_b32_e32 v8, s0
	v_mov_b32_e32 v9, s1
	s_waitcnt vmcnt(0)
	global_atomic_cmpswap_x2 v[8:9], v3, v[8:11], s[2:3] offset:24 glc
	s_waitcnt vmcnt(0)
	v_cmp_eq_u64_e32 vcc, v[8:9], v[10:11]
	v_mov_b32_e32 v11, v9
	s_or_b64 s[4:5], vcc, s[4:5]
	v_mov_b32_e32 v10, v8
	s_andn2_b64 exec, exec, s[4:5]
	s_cbranch_execnz .LBB0_642
.LBB0_643:
	s_or_b64 exec, exec, s[6:7]
	v_readfirstlane_b32 s0, v33
	v_mov_b32_e32 v0, 0
	v_mov_b32_e32 v1, 0
	v_cmp_eq_u32_e64 s[0:1], s0, v33
	s_and_saveexec_b64 s[4:5], s[0:1]
	s_cbranch_execz .LBB0_649
; %bb.644:
	v_mov_b32_e32 v3, 0
	global_load_dwordx2 v[10:11], v3, s[2:3] offset:24 glc
	s_waitcnt vmcnt(0)
	buffer_wbinvl1_vol
	global_load_dwordx2 v[0:1], v3, s[2:3] offset:40
	global_load_dwordx2 v[8:9], v3, s[2:3]
	s_waitcnt vmcnt(0)
	v_and_b32_e32 v0, v0, v10
	v_and_b32_e32 v1, v1, v11
	v_mul_lo_u32 v1, v1, 24
	v_mul_hi_u32 v4, v0, 24
	v_mul_lo_u32 v0, v0, 24
	v_add_u32_e32 v1, v4, v1
	v_add_co_u32_e32 v0, vcc, v8, v0
	v_addc_co_u32_e32 v1, vcc, v9, v1, vcc
	global_load_dwordx2 v[8:9], v[0:1], off glc
	s_waitcnt vmcnt(0)
	global_atomic_cmpswap_x2 v[0:1], v3, v[8:11], s[2:3] offset:24 glc
	s_waitcnt vmcnt(0)
	buffer_wbinvl1_vol
	v_cmp_ne_u64_e32 vcc, v[0:1], v[10:11]
	s_and_saveexec_b64 s[6:7], vcc
	s_cbranch_execz .LBB0_648
; %bb.645:
	s_mov_b64 s[8:9], 0
.LBB0_646:                              ; =>This Inner Loop Header: Depth=1
	s_sleep 1
	global_load_dwordx2 v[8:9], v3, s[2:3] offset:40
	global_load_dwordx2 v[12:13], v3, s[2:3]
	v_mov_b32_e32 v11, v1
	v_mov_b32_e32 v10, v0
	s_waitcnt vmcnt(0)
	v_and_b32_e32 v0, v8, v10
	v_mad_u64_u32 v[0:1], s[10:11], v0, 24, v[12:13]
	v_and_b32_e32 v4, v9, v11
	v_mad_u64_u32 v[8:9], s[10:11], v4, 24, v[1:2]
	v_mov_b32_e32 v1, v8
	global_load_dwordx2 v[8:9], v[0:1], off glc
	s_waitcnt vmcnt(0)
	global_atomic_cmpswap_x2 v[0:1], v3, v[8:11], s[2:3] offset:24 glc
	s_waitcnt vmcnt(0)
	buffer_wbinvl1_vol
	v_cmp_eq_u64_e32 vcc, v[0:1], v[10:11]
	s_or_b64 s[8:9], vcc, s[8:9]
	s_andn2_b64 exec, exec, s[8:9]
	s_cbranch_execnz .LBB0_646
; %bb.647:
	s_or_b64 exec, exec, s[8:9]
.LBB0_648:
	s_or_b64 exec, exec, s[6:7]
.LBB0_649:
	s_or_b64 exec, exec, s[4:5]
	v_mov_b32_e32 v9, 0
	global_load_dwordx2 v[3:4], v9, s[2:3] offset:40
	global_load_dwordx4 v[10:13], v9, s[2:3]
	v_readfirstlane_b32 s5, v1
	v_readfirstlane_b32 s4, v0
	s_mov_b64 s[6:7], exec
	s_waitcnt vmcnt(0)
	v_readfirstlane_b32 s8, v3
	v_readfirstlane_b32 s9, v4
	s_and_b64 s[8:9], s[8:9], s[4:5]
	s_mul_i32 s10, s9, 24
	s_mul_hi_u32 s11, s8, 24
	s_mul_i32 s12, s8, 24
	s_add_i32 s10, s11, s10
	v_mov_b32_e32 v1, s10
	v_add_co_u32_e32 v0, vcc, s12, v10
	v_addc_co_u32_e32 v1, vcc, v11, v1, vcc
	s_and_saveexec_b64 s[10:11], s[0:1]
	s_cbranch_execz .LBB0_651
; %bb.650:
	v_mov_b32_e32 v15, s7
	v_mov_b32_e32 v14, s6
	;; [unrolled: 1-line block ×4, first 2 shown]
	global_store_dwordx4 v[0:1], v[14:17], off offset:8
.LBB0_651:
	s_or_b64 exec, exec, s[10:11]
	s_lshl_b64 s[6:7], s[8:9], 12
	v_mov_b32_e32 v3, s7
	v_add_co_u32_e32 v12, vcc, s6, v12
	v_addc_co_u32_e32 v13, vcc, v13, v3, vcc
	s_movk_i32 s6, 0xff1f
	v_and_or_b32 v6, v6, s6, 32
	v_mov_b32_e32 v8, s23
	v_readfirstlane_b32 s6, v12
	v_readfirstlane_b32 s7, v13
	s_mov_b32 s8, 0
	v_add_co_u32_e32 v3, vcc, v12, v32
	s_mov_b32 s9, s8
	s_mov_b32 s10, s8
	s_nop 0
	global_store_dwordx4 v32, v[6:9], s[6:7]
	s_mov_b32 s11, s8
	v_mov_b32_e32 v6, s8
	v_addc_co_u32_e32 v4, vcc, 0, v13, vcc
	v_mov_b32_e32 v7, s9
	v_mov_b32_e32 v8, s10
	;; [unrolled: 1-line block ×3, first 2 shown]
	global_store_dwordx4 v32, v[6:9], s[6:7] offset:16
	global_store_dwordx4 v32, v[6:9], s[6:7] offset:32
	;; [unrolled: 1-line block ×3, first 2 shown]
	s_and_saveexec_b64 s[6:7], s[0:1]
	s_cbranch_execz .LBB0_659
; %bb.652:
	v_mov_b32_e32 v12, 0
	global_load_dwordx2 v[15:16], v12, s[2:3] offset:32 glc
	global_load_dwordx2 v[6:7], v12, s[2:3] offset:40
	v_mov_b32_e32 v13, s4
	v_mov_b32_e32 v14, s5
	s_waitcnt vmcnt(0)
	v_readfirstlane_b32 s8, v6
	v_readfirstlane_b32 s9, v7
	s_and_b64 s[8:9], s[8:9], s[4:5]
	s_mul_i32 s9, s9, 24
	s_mul_hi_u32 s10, s8, 24
	s_mul_i32 s8, s8, 24
	s_add_i32 s9, s10, s9
	v_mov_b32_e32 v6, s9
	v_add_co_u32_e32 v10, vcc, s8, v10
	v_addc_co_u32_e32 v11, vcc, v11, v6, vcc
	global_store_dwordx2 v[10:11], v[15:16], off
	s_waitcnt vmcnt(0)
	global_atomic_cmpswap_x2 v[8:9], v12, v[13:16], s[2:3] offset:32 glc
	s_waitcnt vmcnt(0)
	v_cmp_ne_u64_e32 vcc, v[8:9], v[15:16]
	s_and_saveexec_b64 s[8:9], vcc
	s_cbranch_execz .LBB0_655
; %bb.653:
	s_mov_b64 s[10:11], 0
.LBB0_654:                              ; =>This Inner Loop Header: Depth=1
	s_sleep 1
	global_store_dwordx2 v[10:11], v[8:9], off
	v_mov_b32_e32 v6, s4
	v_mov_b32_e32 v7, s5
	s_waitcnt vmcnt(0)
	global_atomic_cmpswap_x2 v[6:7], v12, v[6:9], s[2:3] offset:32 glc
	s_waitcnt vmcnt(0)
	v_cmp_eq_u64_e32 vcc, v[6:7], v[8:9]
	v_mov_b32_e32 v9, v7
	s_or_b64 s[10:11], vcc, s[10:11]
	v_mov_b32_e32 v8, v6
	s_andn2_b64 exec, exec, s[10:11]
	s_cbranch_execnz .LBB0_654
.LBB0_655:
	s_or_b64 exec, exec, s[8:9]
	v_mov_b32_e32 v9, 0
	global_load_dwordx2 v[6:7], v9, s[2:3] offset:16
	s_mov_b64 s[8:9], exec
	v_mbcnt_lo_u32_b32 v8, s8, 0
	v_mbcnt_hi_u32_b32 v8, s9, v8
	v_cmp_eq_u32_e32 vcc, 0, v8
	s_and_saveexec_b64 s[10:11], vcc
	s_cbranch_execz .LBB0_657
; %bb.656:
	s_bcnt1_i32_b64 s8, s[8:9]
	v_mov_b32_e32 v8, s8
	s_waitcnt vmcnt(0)
	global_atomic_add_x2 v[6:7], v[8:9], off offset:8
.LBB0_657:
	s_or_b64 exec, exec, s[10:11]
	s_waitcnt vmcnt(0)
	global_load_dwordx2 v[8:9], v[6:7], off offset:16
	s_waitcnt vmcnt(0)
	v_cmp_eq_u64_e32 vcc, 0, v[8:9]
	s_cbranch_vccnz .LBB0_659
; %bb.658:
	global_load_dword v6, v[6:7], off offset:24
	v_mov_b32_e32 v7, 0
	s_waitcnt vmcnt(0)
	v_readfirstlane_b32 s8, v6
	s_and_b32 m0, s8, 0xffffff
	global_store_dwordx2 v[8:9], v[6:7], off
	s_sendmsg sendmsg(MSG_INTERRUPT)
.LBB0_659:
	s_or_b64 exec, exec, s[6:7]
	s_branch .LBB0_663
.LBB0_660:                              ;   in Loop: Header=BB0_663 Depth=1
	s_or_b64 exec, exec, s[6:7]
	v_readfirstlane_b32 s6, v6
	s_cmp_eq_u32 s6, 0
	s_cbranch_scc1 .LBB0_662
; %bb.661:                              ;   in Loop: Header=BB0_663 Depth=1
	s_sleep 1
	s_cbranch_execnz .LBB0_663
	s_branch .LBB0_665
.LBB0_662:
	s_branch .LBB0_665
.LBB0_663:                              ; =>This Inner Loop Header: Depth=1
	v_mov_b32_e32 v6, 1
	s_and_saveexec_b64 s[6:7], s[0:1]
	s_cbranch_execz .LBB0_660
; %bb.664:                              ;   in Loop: Header=BB0_663 Depth=1
	global_load_dword v6, v[0:1], off offset:20 glc
	s_waitcnt vmcnt(0)
	buffer_wbinvl1_vol
	v_and_b32_e32 v6, 1, v6
	s_branch .LBB0_660
.LBB0_665:
	global_load_dwordx2 v[3:4], v[3:4], off
	s_and_saveexec_b64 s[6:7], s[0:1]
	s_cbranch_execz .LBB0_668
; %bb.666:
	v_mov_b32_e32 v10, 0
	global_load_dwordx2 v[0:1], v10, s[2:3] offset:40
	global_load_dwordx2 v[13:14], v10, s[2:3] offset:24 glc
	global_load_dwordx2 v[6:7], v10, s[2:3]
	s_waitcnt vmcnt(0)
	v_readfirstlane_b32 s8, v0
	v_readfirstlane_b32 s9, v1
	s_add_u32 s10, s8, 1
	s_addc_u32 s11, s9, 0
	s_add_u32 s0, s10, s4
	s_addc_u32 s1, s11, s5
	s_cmp_eq_u64 s[0:1], 0
	s_cselect_b32 s1, s11, s1
	s_cselect_b32 s0, s10, s0
	s_and_b64 s[4:5], s[0:1], s[8:9]
	s_mul_i32 s5, s5, 24
	s_mul_hi_u32 s8, s4, 24
	s_mul_i32 s4, s4, 24
	s_add_i32 s5, s8, s5
	v_mov_b32_e32 v1, s5
	v_add_co_u32_e32 v0, vcc, s4, v6
	v_addc_co_u32_e32 v1, vcc, v7, v1, vcc
	v_mov_b32_e32 v11, s0
	global_store_dwordx2 v[0:1], v[13:14], off
	v_mov_b32_e32 v12, s1
	s_waitcnt vmcnt(0)
	global_atomic_cmpswap_x2 v[8:9], v10, v[11:14], s[2:3] offset:24 glc
	s_mov_b64 s[4:5], 0
	s_waitcnt vmcnt(0)
	v_cmp_ne_u64_e32 vcc, v[8:9], v[13:14]
	s_and_b64 exec, exec, vcc
	s_cbranch_execz .LBB0_668
.LBB0_667:                              ; =>This Inner Loop Header: Depth=1
	s_sleep 1
	global_store_dwordx2 v[0:1], v[8:9], off
	v_mov_b32_e32 v6, s0
	v_mov_b32_e32 v7, s1
	s_waitcnt vmcnt(0)
	global_atomic_cmpswap_x2 v[6:7], v10, v[6:9], s[2:3] offset:24 glc
	s_waitcnt vmcnt(0)
	v_cmp_eq_u64_e32 vcc, v[6:7], v[8:9]
	v_mov_b32_e32 v9, v7
	s_or_b64 s[4:5], vcc, s[4:5]
	v_mov_b32_e32 v8, v6
	s_andn2_b64 exec, exec, s[4:5]
	s_cbranch_execnz .LBB0_667
.LBB0_668:
	s_or_b64 exec, exec, s[6:7]
	v_readfirstlane_b32 s0, v33
	v_mov_b32_e32 v0, 0
	v_mov_b32_e32 v1, 0
	v_cmp_eq_u32_e64 s[0:1], s0, v33
	s_and_saveexec_b64 s[4:5], s[0:1]
	s_cbranch_execz .LBB0_674
; %bb.669:
	v_mov_b32_e32 v6, 0
	global_load_dwordx2 v[9:10], v6, s[2:3] offset:24 glc
	s_waitcnt vmcnt(0)
	buffer_wbinvl1_vol
	global_load_dwordx2 v[0:1], v6, s[2:3] offset:40
	global_load_dwordx2 v[7:8], v6, s[2:3]
	s_waitcnt vmcnt(0)
	v_and_b32_e32 v0, v0, v9
	v_and_b32_e32 v1, v1, v10
	v_mul_lo_u32 v1, v1, 24
	v_mul_hi_u32 v11, v0, 24
	v_mul_lo_u32 v0, v0, 24
	v_add_u32_e32 v1, v11, v1
	v_add_co_u32_e32 v0, vcc, v7, v0
	v_addc_co_u32_e32 v1, vcc, v8, v1, vcc
	global_load_dwordx2 v[7:8], v[0:1], off glc
	s_waitcnt vmcnt(0)
	global_atomic_cmpswap_x2 v[0:1], v6, v[7:10], s[2:3] offset:24 glc
	s_waitcnt vmcnt(0)
	buffer_wbinvl1_vol
	v_cmp_ne_u64_e32 vcc, v[0:1], v[9:10]
	s_and_saveexec_b64 s[6:7], vcc
	s_cbranch_execz .LBB0_673
; %bb.670:
	s_mov_b64 s[8:9], 0
.LBB0_671:                              ; =>This Inner Loop Header: Depth=1
	s_sleep 1
	global_load_dwordx2 v[7:8], v6, s[2:3] offset:40
	global_load_dwordx2 v[11:12], v6, s[2:3]
	v_mov_b32_e32 v10, v1
	v_mov_b32_e32 v9, v0
	s_waitcnt vmcnt(0)
	v_and_b32_e32 v0, v7, v9
	v_mad_u64_u32 v[0:1], s[10:11], v0, 24, v[11:12]
	v_and_b32_e32 v7, v8, v10
	v_mad_u64_u32 v[7:8], s[10:11], v7, 24, v[1:2]
	v_mov_b32_e32 v1, v7
	global_load_dwordx2 v[7:8], v[0:1], off glc
	s_waitcnt vmcnt(0)
	global_atomic_cmpswap_x2 v[0:1], v6, v[7:10], s[2:3] offset:24 glc
	s_waitcnt vmcnt(0)
	buffer_wbinvl1_vol
	v_cmp_eq_u64_e32 vcc, v[0:1], v[9:10]
	s_or_b64 s[8:9], vcc, s[8:9]
	s_andn2_b64 exec, exec, s[8:9]
	s_cbranch_execnz .LBB0_671
; %bb.672:
	s_or_b64 exec, exec, s[8:9]
.LBB0_673:
	s_or_b64 exec, exec, s[6:7]
.LBB0_674:
	s_or_b64 exec, exec, s[4:5]
	v_mov_b32_e32 v6, 0
	global_load_dwordx2 v[11:12], v6, s[2:3] offset:40
	global_load_dwordx4 v[7:10], v6, s[2:3]
	v_readfirstlane_b32 s5, v1
	v_readfirstlane_b32 s4, v0
	s_mov_b64 s[6:7], exec
	s_waitcnt vmcnt(0)
	v_readfirstlane_b32 s8, v11
	v_readfirstlane_b32 s9, v12
	s_and_b64 s[8:9], s[8:9], s[4:5]
	s_mul_i32 s10, s9, 24
	s_mul_hi_u32 s11, s8, 24
	s_mul_i32 s12, s8, 24
	s_add_i32 s10, s11, s10
	v_mov_b32_e32 v1, s10
	v_add_co_u32_e32 v0, vcc, s12, v7
	v_addc_co_u32_e32 v1, vcc, v8, v1, vcc
	s_and_saveexec_b64 s[10:11], s[0:1]
	s_cbranch_execz .LBB0_676
; %bb.675:
	v_mov_b32_e32 v12, s7
	v_mov_b32_e32 v11, s6
	;; [unrolled: 1-line block ×4, first 2 shown]
	global_store_dwordx4 v[0:1], v[11:14], off offset:8
.LBB0_676:
	s_or_b64 exec, exec, s[10:11]
	s_lshl_b64 s[6:7], s[8:9], 12
	v_mov_b32_e32 v11, s7
	v_add_co_u32_e32 v12, vcc, s6, v9
	v_addc_co_u32_e32 v11, vcc, v10, v11, vcc
	s_movk_i32 s6, 0xff1f
	v_and_or_b32 v3, v3, s6, 32
	v_readfirstlane_b32 s6, v12
	v_readfirstlane_b32 s7, v11
	s_mov_b32 s8, 0
	v_add_co_u32_e32 v9, vcc, v12, v32
	s_mov_b32 s9, s8
	s_mov_b32 s10, s8
	s_waitcnt lgkmcnt(0)
	global_store_dwordx4 v32, v[3:6], s[6:7]
	s_mov_b32 s11, s8
	v_mov_b32_e32 v3, s8
	v_addc_co_u32_e32 v10, vcc, 0, v11, vcc
	v_mov_b32_e32 v4, s9
	v_mov_b32_e32 v5, s10
	;; [unrolled: 1-line block ×3, first 2 shown]
	global_store_dwordx4 v32, v[3:6], s[6:7] offset:16
	global_store_dwordx4 v32, v[3:6], s[6:7] offset:32
	;; [unrolled: 1-line block ×3, first 2 shown]
	s_and_saveexec_b64 s[6:7], s[0:1]
	s_cbranch_execz .LBB0_684
; %bb.677:
	v_mov_b32_e32 v11, 0
	global_load_dwordx2 v[14:15], v11, s[2:3] offset:32 glc
	global_load_dwordx2 v[3:4], v11, s[2:3] offset:40
	v_mov_b32_e32 v12, s4
	v_mov_b32_e32 v13, s5
	s_waitcnt vmcnt(0)
	v_readfirstlane_b32 s8, v3
	v_readfirstlane_b32 s9, v4
	s_and_b64 s[8:9], s[8:9], s[4:5]
	s_mul_i32 s9, s9, 24
	s_mul_hi_u32 s10, s8, 24
	s_mul_i32 s8, s8, 24
	s_add_i32 s9, s10, s9
	v_mov_b32_e32 v3, s9
	v_add_co_u32_e32 v7, vcc, s8, v7
	v_addc_co_u32_e32 v8, vcc, v8, v3, vcc
	global_store_dwordx2 v[7:8], v[14:15], off
	s_waitcnt vmcnt(0)
	global_atomic_cmpswap_x2 v[5:6], v11, v[12:15], s[2:3] offset:32 glc
	s_waitcnt vmcnt(0)
	v_cmp_ne_u64_e32 vcc, v[5:6], v[14:15]
	s_and_saveexec_b64 s[8:9], vcc
	s_cbranch_execz .LBB0_680
; %bb.678:
	s_mov_b64 s[10:11], 0
.LBB0_679:                              ; =>This Inner Loop Header: Depth=1
	s_sleep 1
	global_store_dwordx2 v[7:8], v[5:6], off
	v_mov_b32_e32 v3, s4
	v_mov_b32_e32 v4, s5
	s_waitcnt vmcnt(0)
	global_atomic_cmpswap_x2 v[3:4], v11, v[3:6], s[2:3] offset:32 glc
	s_waitcnt vmcnt(0)
	v_cmp_eq_u64_e32 vcc, v[3:4], v[5:6]
	v_mov_b32_e32 v6, v4
	s_or_b64 s[10:11], vcc, s[10:11]
	v_mov_b32_e32 v5, v3
	s_andn2_b64 exec, exec, s[10:11]
	s_cbranch_execnz .LBB0_679
.LBB0_680:
	s_or_b64 exec, exec, s[8:9]
	v_mov_b32_e32 v6, 0
	global_load_dwordx2 v[3:4], v6, s[2:3] offset:16
	s_mov_b64 s[8:9], exec
	v_mbcnt_lo_u32_b32 v5, s8, 0
	v_mbcnt_hi_u32_b32 v5, s9, v5
	v_cmp_eq_u32_e32 vcc, 0, v5
	s_and_saveexec_b64 s[10:11], vcc
	s_cbranch_execz .LBB0_682
; %bb.681:
	s_bcnt1_i32_b64 s8, s[8:9]
	v_mov_b32_e32 v5, s8
	s_waitcnt vmcnt(0)
	global_atomic_add_x2 v[3:4], v[5:6], off offset:8
.LBB0_682:
	s_or_b64 exec, exec, s[10:11]
	s_waitcnt vmcnt(0)
	global_load_dwordx2 v[5:6], v[3:4], off offset:16
	s_waitcnt vmcnt(0)
	v_cmp_eq_u64_e32 vcc, 0, v[5:6]
	s_cbranch_vccnz .LBB0_684
; %bb.683:
	global_load_dword v3, v[3:4], off offset:24
	v_mov_b32_e32 v4, 0
	s_waitcnt vmcnt(0)
	v_readfirstlane_b32 s8, v3
	s_and_b32 m0, s8, 0xffffff
	global_store_dwordx2 v[5:6], v[3:4], off
	s_sendmsg sendmsg(MSG_INTERRUPT)
.LBB0_684:
	s_or_b64 exec, exec, s[6:7]
	s_branch .LBB0_688
.LBB0_685:                              ;   in Loop: Header=BB0_688 Depth=1
	s_or_b64 exec, exec, s[6:7]
	v_readfirstlane_b32 s6, v3
	s_cmp_eq_u32 s6, 0
	s_cbranch_scc1 .LBB0_687
; %bb.686:                              ;   in Loop: Header=BB0_688 Depth=1
	s_sleep 1
	s_cbranch_execnz .LBB0_688
	s_branch .LBB0_690
.LBB0_687:
	s_branch .LBB0_690
.LBB0_688:                              ; =>This Inner Loop Header: Depth=1
	v_mov_b32_e32 v3, 1
	s_and_saveexec_b64 s[6:7], s[0:1]
	s_cbranch_execz .LBB0_685
; %bb.689:                              ;   in Loop: Header=BB0_688 Depth=1
	global_load_dword v3, v[0:1], off offset:20 glc
	s_waitcnt vmcnt(0)
	buffer_wbinvl1_vol
	v_and_b32_e32 v3, 1, v3
	s_branch .LBB0_685
.LBB0_690:
	global_load_dwordx2 v[0:1], v[9:10], off
	s_and_saveexec_b64 s[6:7], s[0:1]
	s_cbranch_execz .LBB0_693
; %bb.691:
	v_mov_b32_e32 v9, 0
	global_load_dwordx2 v[3:4], v9, s[2:3] offset:40
	global_load_dwordx2 v[12:13], v9, s[2:3] offset:24 glc
	global_load_dwordx2 v[5:6], v9, s[2:3]
	s_waitcnt vmcnt(2)
	v_readfirstlane_b32 s8, v3
	v_readfirstlane_b32 s9, v4
	s_add_u32 s10, s8, 1
	s_addc_u32 s11, s9, 0
	s_add_u32 s0, s10, s4
	s_addc_u32 s1, s11, s5
	s_cmp_eq_u64 s[0:1], 0
	s_cselect_b32 s1, s11, s1
	s_cselect_b32 s0, s10, s0
	s_and_b64 s[4:5], s[0:1], s[8:9]
	s_mul_i32 s5, s5, 24
	s_mul_hi_u32 s8, s4, 24
	s_mul_i32 s4, s4, 24
	s_add_i32 s5, s8, s5
	v_mov_b32_e32 v3, s5
	s_waitcnt vmcnt(0)
	v_add_co_u32_e32 v7, vcc, s4, v5
	v_addc_co_u32_e32 v8, vcc, v6, v3, vcc
	v_mov_b32_e32 v10, s0
	global_store_dwordx2 v[7:8], v[12:13], off
	v_mov_b32_e32 v11, s1
	s_waitcnt vmcnt(0)
	global_atomic_cmpswap_x2 v[5:6], v9, v[10:13], s[2:3] offset:24 glc
	s_mov_b64 s[4:5], 0
	s_waitcnt vmcnt(0)
	v_cmp_ne_u64_e32 vcc, v[5:6], v[12:13]
	s_and_b64 exec, exec, vcc
	s_cbranch_execz .LBB0_693
.LBB0_692:                              ; =>This Inner Loop Header: Depth=1
	s_sleep 1
	global_store_dwordx2 v[7:8], v[5:6], off
	v_mov_b32_e32 v3, s0
	v_mov_b32_e32 v4, s1
	s_waitcnt vmcnt(0)
	global_atomic_cmpswap_x2 v[3:4], v9, v[3:6], s[2:3] offset:24 glc
	s_waitcnt vmcnt(0)
	v_cmp_eq_u64_e32 vcc, v[3:4], v[5:6]
	v_mov_b32_e32 v6, v4
	s_or_b64 s[4:5], vcc, s[4:5]
	v_mov_b32_e32 v5, v3
	s_andn2_b64 exec, exec, s[4:5]
	s_cbranch_execnz .LBB0_692
.LBB0_693:
	s_or_b64 exec, exec, s[6:7]
	v_readfirstlane_b32 s0, v33
	v_mov_b32_e32 v8, 0
	v_mov_b32_e32 v9, 0
	v_cmp_eq_u32_e64 s[0:1], s0, v33
	s_and_saveexec_b64 s[4:5], s[0:1]
	s_cbranch_execz .LBB0_699
; %bb.694:
	v_mov_b32_e32 v3, 0
	global_load_dwordx2 v[6:7], v3, s[2:3] offset:24 glc
	s_waitcnt vmcnt(0)
	buffer_wbinvl1_vol
	global_load_dwordx2 v[4:5], v3, s[2:3] offset:40
	global_load_dwordx2 v[8:9], v3, s[2:3]
	s_waitcnt vmcnt(1)
	v_and_b32_e32 v4, v4, v6
	v_and_b32_e32 v5, v5, v7
	v_mul_lo_u32 v5, v5, 24
	v_mul_hi_u32 v10, v4, 24
	v_mul_lo_u32 v4, v4, 24
	v_add_u32_e32 v5, v10, v5
	s_waitcnt vmcnt(0)
	v_add_co_u32_e32 v4, vcc, v8, v4
	v_addc_co_u32_e32 v5, vcc, v9, v5, vcc
	global_load_dwordx2 v[4:5], v[4:5], off glc
	s_waitcnt vmcnt(0)
	global_atomic_cmpswap_x2 v[8:9], v3, v[4:7], s[2:3] offset:24 glc
	s_waitcnt vmcnt(0)
	buffer_wbinvl1_vol
	v_cmp_ne_u64_e32 vcc, v[8:9], v[6:7]
	s_and_saveexec_b64 s[6:7], vcc
	s_cbranch_execz .LBB0_698
; %bb.695:
	s_mov_b64 s[8:9], 0
.LBB0_696:                              ; =>This Inner Loop Header: Depth=1
	s_sleep 1
	global_load_dwordx2 v[4:5], v3, s[2:3] offset:40
	global_load_dwordx2 v[10:11], v3, s[2:3]
	v_mov_b32_e32 v6, v8
	v_mov_b32_e32 v7, v9
	s_waitcnt vmcnt(1)
	v_and_b32_e32 v4, v4, v6
	s_waitcnt vmcnt(0)
	v_mad_u64_u32 v[8:9], s[10:11], v4, 24, v[10:11]
	v_and_b32_e32 v5, v5, v7
	v_mov_b32_e32 v4, v9
	v_mad_u64_u32 v[4:5], s[10:11], v5, 24, v[4:5]
	v_mov_b32_e32 v9, v4
	global_load_dwordx2 v[4:5], v[8:9], off glc
	s_waitcnt vmcnt(0)
	global_atomic_cmpswap_x2 v[8:9], v3, v[4:7], s[2:3] offset:24 glc
	s_waitcnt vmcnt(0)
	buffer_wbinvl1_vol
	v_cmp_eq_u64_e32 vcc, v[8:9], v[6:7]
	s_or_b64 s[8:9], vcc, s[8:9]
	s_andn2_b64 exec, exec, s[8:9]
	s_cbranch_execnz .LBB0_696
; %bb.697:
	s_or_b64 exec, exec, s[8:9]
.LBB0_698:
	s_or_b64 exec, exec, s[6:7]
.LBB0_699:
	s_or_b64 exec, exec, s[4:5]
	v_mov_b32_e32 v3, 0
	global_load_dwordx2 v[10:11], v3, s[2:3] offset:40
	global_load_dwordx4 v[4:7], v3, s[2:3]
	v_readfirstlane_b32 s5, v9
	v_readfirstlane_b32 s4, v8
	s_mov_b64 s[6:7], exec
	s_waitcnt vmcnt(1)
	v_readfirstlane_b32 s8, v10
	v_readfirstlane_b32 s9, v11
	s_and_b64 s[8:9], s[8:9], s[4:5]
	s_mul_i32 s10, s9, 24
	s_mul_hi_u32 s11, s8, 24
	s_mul_i32 s12, s8, 24
	s_add_i32 s10, s11, s10
	v_mov_b32_e32 v9, s10
	s_waitcnt vmcnt(0)
	v_add_co_u32_e32 v8, vcc, s12, v4
	v_addc_co_u32_e32 v9, vcc, v5, v9, vcc
	s_and_saveexec_b64 s[10:11], s[0:1]
	s_cbranch_execz .LBB0_701
; %bb.700:
	v_mov_b32_e32 v11, s7
	v_mov_b32_e32 v10, s6
	;; [unrolled: 1-line block ×4, first 2 shown]
	global_store_dwordx4 v[8:9], v[10:13], off offset:8
.LBB0_701:
	s_or_b64 exec, exec, s[10:11]
	s_lshl_b64 s[6:7], s[8:9], 12
	v_mov_b32_e32 v10, s7
	v_add_co_u32_e32 v6, vcc, s6, v6
	v_addc_co_u32_e32 v7, vcc, v7, v10, vcc
	s_movk_i32 s6, 0xff1d
	v_and_or_b32 v0, v0, s6, 34
	v_readfirstlane_b32 s6, v6
	v_readfirstlane_b32 s7, v7
	s_mov_b32 s8, 0
	s_mov_b32 s9, s8
	;; [unrolled: 1-line block ×4, first 2 shown]
	s_nop 0
	global_store_dwordx4 v32, v[0:3], s[6:7]
	s_nop 0
	v_mov_b32_e32 v0, s8
	v_mov_b32_e32 v1, s9
	;; [unrolled: 1-line block ×4, first 2 shown]
	global_store_dwordx4 v32, v[0:3], s[6:7] offset:16
	global_store_dwordx4 v32, v[0:3], s[6:7] offset:32
	;; [unrolled: 1-line block ×3, first 2 shown]
	s_and_saveexec_b64 s[6:7], s[0:1]
	s_cbranch_execz .LBB0_709
; %bb.702:
	v_mov_b32_e32 v6, 0
	global_load_dwordx2 v[12:13], v6, s[2:3] offset:32 glc
	global_load_dwordx2 v[0:1], v6, s[2:3] offset:40
	v_mov_b32_e32 v10, s4
	v_mov_b32_e32 v11, s5
	s_waitcnt vmcnt(0)
	v_readfirstlane_b32 s8, v0
	v_readfirstlane_b32 s9, v1
	s_and_b64 s[8:9], s[8:9], s[4:5]
	s_mul_i32 s9, s9, 24
	s_mul_hi_u32 s10, s8, 24
	s_mul_i32 s8, s8, 24
	s_add_i32 s9, s10, s9
	v_mov_b32_e32 v0, s9
	v_add_co_u32_e32 v4, vcc, s8, v4
	v_addc_co_u32_e32 v5, vcc, v5, v0, vcc
	global_store_dwordx2 v[4:5], v[12:13], off
	s_waitcnt vmcnt(0)
	global_atomic_cmpswap_x2 v[2:3], v6, v[10:13], s[2:3] offset:32 glc
	s_waitcnt vmcnt(0)
	v_cmp_ne_u64_e32 vcc, v[2:3], v[12:13]
	s_and_saveexec_b64 s[8:9], vcc
	s_cbranch_execz .LBB0_705
; %bb.703:
	s_mov_b64 s[10:11], 0
.LBB0_704:                              ; =>This Inner Loop Header: Depth=1
	s_sleep 1
	global_store_dwordx2 v[4:5], v[2:3], off
	v_mov_b32_e32 v0, s4
	v_mov_b32_e32 v1, s5
	s_waitcnt vmcnt(0)
	global_atomic_cmpswap_x2 v[0:1], v6, v[0:3], s[2:3] offset:32 glc
	s_waitcnt vmcnt(0)
	v_cmp_eq_u64_e32 vcc, v[0:1], v[2:3]
	v_mov_b32_e32 v3, v1
	s_or_b64 s[10:11], vcc, s[10:11]
	v_mov_b32_e32 v2, v0
	s_andn2_b64 exec, exec, s[10:11]
	s_cbranch_execnz .LBB0_704
.LBB0_705:
	s_or_b64 exec, exec, s[8:9]
	v_mov_b32_e32 v3, 0
	global_load_dwordx2 v[0:1], v3, s[2:3] offset:16
	s_mov_b64 s[8:9], exec
	v_mbcnt_lo_u32_b32 v2, s8, 0
	v_mbcnt_hi_u32_b32 v2, s9, v2
	v_cmp_eq_u32_e32 vcc, 0, v2
	s_and_saveexec_b64 s[10:11], vcc
	s_cbranch_execz .LBB0_707
; %bb.706:
	s_bcnt1_i32_b64 s8, s[8:9]
	v_mov_b32_e32 v2, s8
	s_waitcnt vmcnt(0)
	global_atomic_add_x2 v[0:1], v[2:3], off offset:8
.LBB0_707:
	s_or_b64 exec, exec, s[10:11]
	s_waitcnt vmcnt(0)
	global_load_dwordx2 v[2:3], v[0:1], off offset:16
	s_waitcnt vmcnt(0)
	v_cmp_eq_u64_e32 vcc, 0, v[2:3]
	s_cbranch_vccnz .LBB0_709
; %bb.708:
	global_load_dword v0, v[0:1], off offset:24
	v_mov_b32_e32 v1, 0
	s_waitcnt vmcnt(0)
	v_readfirstlane_b32 s8, v0
	s_and_b32 m0, s8, 0xffffff
	global_store_dwordx2 v[2:3], v[0:1], off
	s_sendmsg sendmsg(MSG_INTERRUPT)
.LBB0_709:
	s_or_b64 exec, exec, s[6:7]
	s_branch .LBB0_713
.LBB0_710:                              ;   in Loop: Header=BB0_713 Depth=1
	s_or_b64 exec, exec, s[6:7]
	v_readfirstlane_b32 s6, v0
	s_cmp_eq_u32 s6, 0
	s_cbranch_scc1 .LBB0_712
; %bb.711:                              ;   in Loop: Header=BB0_713 Depth=1
	s_sleep 1
	s_cbranch_execnz .LBB0_713
	s_branch .LBB0_715
.LBB0_712:
	s_branch .LBB0_715
.LBB0_713:                              ; =>This Inner Loop Header: Depth=1
	v_mov_b32_e32 v0, 1
	s_and_saveexec_b64 s[6:7], s[0:1]
	s_cbranch_execz .LBB0_710
; %bb.714:                              ;   in Loop: Header=BB0_713 Depth=1
	global_load_dword v0, v[8:9], off offset:20 glc
	s_waitcnt vmcnt(0)
	buffer_wbinvl1_vol
	v_and_b32_e32 v0, 1, v0
	s_branch .LBB0_710
.LBB0_715:
	s_and_saveexec_b64 s[6:7], s[0:1]
	s_cbranch_execz .LBB0_718
; %bb.716:
	v_mov_b32_e32 v6, 0
	global_load_dwordx2 v[0:1], v6, s[2:3] offset:40
	global_load_dwordx2 v[9:10], v6, s[2:3] offset:24 glc
	global_load_dwordx2 v[2:3], v6, s[2:3]
	s_waitcnt vmcnt(2)
	v_readfirstlane_b32 s6, v0
	v_readfirstlane_b32 s7, v1
	s_add_u32 s8, s6, 1
	s_addc_u32 s9, s7, 0
	s_add_u32 s0, s8, s4
	s_addc_u32 s1, s9, s5
	s_cmp_eq_u64 s[0:1], 0
	s_cselect_b32 s1, s9, s1
	s_cselect_b32 s0, s8, s0
	s_and_b64 s[4:5], s[0:1], s[6:7]
	s_mul_i32 s5, s5, 24
	s_mul_hi_u32 s6, s4, 24
	s_mul_i32 s4, s4, 24
	s_add_i32 s5, s6, s5
	v_mov_b32_e32 v0, s5
	s_waitcnt vmcnt(0)
	v_add_co_u32_e32 v4, vcc, s4, v2
	v_addc_co_u32_e32 v5, vcc, v3, v0, vcc
	v_mov_b32_e32 v7, s0
	global_store_dwordx2 v[4:5], v[9:10], off
	v_mov_b32_e32 v8, s1
	s_waitcnt vmcnt(0)
	global_atomic_cmpswap_x2 v[2:3], v6, v[7:10], s[2:3] offset:24 glc
	s_mov_b64 s[4:5], 0
	s_waitcnt vmcnt(0)
	v_cmp_ne_u64_e32 vcc, v[2:3], v[9:10]
	s_and_b64 exec, exec, vcc
	s_cbranch_execz .LBB0_718
.LBB0_717:                              ; =>This Inner Loop Header: Depth=1
	s_sleep 1
	global_store_dwordx2 v[4:5], v[2:3], off
	v_mov_b32_e32 v0, s0
	v_mov_b32_e32 v1, s1
	s_waitcnt vmcnt(0)
	global_atomic_cmpswap_x2 v[0:1], v6, v[0:3], s[2:3] offset:24 glc
	s_waitcnt vmcnt(0)
	v_cmp_eq_u64_e32 vcc, v[0:1], v[2:3]
	v_mov_b32_e32 v3, v1
	s_or_b64 s[4:5], vcc, s[4:5]
	v_mov_b32_e32 v2, v0
	s_andn2_b64 exec, exec, s[4:5]
	s_cbranch_execnz .LBB0_717
.LBB0_718:
	s_endpgm
	.section	.rodata,"a",@progbits
	.p2align	6, 0x0
	.amdhsa_kernel _Z8kernel_aiPViiPi
		.amdhsa_group_segment_fixed_size 0
		.amdhsa_private_segment_fixed_size 0
		.amdhsa_kernarg_size 288
		.amdhsa_user_sgpr_count 6
		.amdhsa_user_sgpr_private_segment_buffer 1
		.amdhsa_user_sgpr_dispatch_ptr 0
		.amdhsa_user_sgpr_queue_ptr 0
		.amdhsa_user_sgpr_kernarg_segment_ptr 1
		.amdhsa_user_sgpr_dispatch_id 0
		.amdhsa_user_sgpr_flat_scratch_init 0
		.amdhsa_user_sgpr_private_segment_size 0
		.amdhsa_uses_dynamic_stack 0
		.amdhsa_system_sgpr_private_segment_wavefront_offset 0
		.amdhsa_system_sgpr_workgroup_id_x 1
		.amdhsa_system_sgpr_workgroup_id_y 0
		.amdhsa_system_sgpr_workgroup_id_z 0
		.amdhsa_system_sgpr_workgroup_info 0
		.amdhsa_system_vgpr_workitem_id 0
		.amdhsa_next_free_vgpr 35
		.amdhsa_next_free_sgpr 26
		.amdhsa_reserve_vcc 1
		.amdhsa_reserve_flat_scratch 0
		.amdhsa_float_round_mode_32 0
		.amdhsa_float_round_mode_16_64 0
		.amdhsa_float_denorm_mode_32 3
		.amdhsa_float_denorm_mode_16_64 3
		.amdhsa_dx10_clamp 1
		.amdhsa_ieee_mode 1
		.amdhsa_fp16_overflow 0
		.amdhsa_exception_fp_ieee_invalid_op 0
		.amdhsa_exception_fp_denorm_src 0
		.amdhsa_exception_fp_ieee_div_zero 0
		.amdhsa_exception_fp_ieee_overflow 0
		.amdhsa_exception_fp_ieee_underflow 0
		.amdhsa_exception_fp_ieee_inexact 0
		.amdhsa_exception_int_div_zero 0
	.end_amdhsa_kernel
	.text
.Lfunc_end0:
	.size	_Z8kernel_aiPViiPi, .Lfunc_end0-_Z8kernel_aiPViiPi
                                        ; -- End function
	.set _Z8kernel_aiPViiPi.num_vgpr, 35
	.set _Z8kernel_aiPViiPi.num_agpr, 0
	.set _Z8kernel_aiPViiPi.numbered_sgpr, 26
	.set _Z8kernel_aiPViiPi.num_named_barrier, 0
	.set _Z8kernel_aiPViiPi.private_seg_size, 0
	.set _Z8kernel_aiPViiPi.uses_vcc, 1
	.set _Z8kernel_aiPViiPi.uses_flat_scratch, 0
	.set _Z8kernel_aiPViiPi.has_dyn_sized_stack, 0
	.set _Z8kernel_aiPViiPi.has_recursion, 0
	.set _Z8kernel_aiPViiPi.has_indirect_call, 0
	.section	.AMDGPU.csdata,"",@progbits
; Kernel info:
; codeLenInByte = 27668
; TotalNumSgprs: 30
; NumVgprs: 35
; ScratchSize: 0
; MemoryBound: 0
; FloatMode: 240
; IeeeMode: 1
; LDSByteSize: 0 bytes/workgroup (compile time only)
; SGPRBlocks: 3
; VGPRBlocks: 8
; NumSGPRsForWavesPerEU: 30
; NumVGPRsForWavesPerEU: 35
; Occupancy: 7
; WaveLimiterHint : 1
; COMPUTE_PGM_RSRC2:SCRATCH_EN: 0
; COMPUTE_PGM_RSRC2:USER_SGPR: 6
; COMPUTE_PGM_RSRC2:TRAP_HANDLER: 0
; COMPUTE_PGM_RSRC2:TGID_X_EN: 1
; COMPUTE_PGM_RSRC2:TGID_Y_EN: 0
; COMPUTE_PGM_RSRC2:TGID_Z_EN: 0
; COMPUTE_PGM_RSRC2:TIDIG_COMP_CNT: 0
	.section	.AMDGPU.gpr_maximums,"",@progbits
	.set amdgpu.max_num_vgpr, 0
	.set amdgpu.max_num_agpr, 0
	.set amdgpu.max_num_sgpr, 0
	.section	.AMDGPU.csdata,"",@progbits
	.type	.str,@object                    ; @.str
	.section	.rodata.str1.1,"aMS",@progbits,1
.str:
	.asciz	"[device=%i][begin]  Wait on %i: %i (%i)\n"
	.size	.str, 41

	.type	.str.1,@object                  ; @.str.1
.str.1:
	.asciz	"[device=%i][break]  Wait on %i: %i (%i)\n"
	.size	.str.1, 41

	.type	.str.2,@object                  ; @.str.2
.str.2:
	.asciz	"[device=%i][return] Wait on %i: %i (%i)\n"
	.size	.str.2, 41

	.type	__hip_cuid_40784fefea391e22,@object ; @__hip_cuid_40784fefea391e22
	.section	.bss,"aw",@nobits
	.globl	__hip_cuid_40784fefea391e22
__hip_cuid_40784fefea391e22:
	.byte	0                               ; 0x0
	.size	__hip_cuid_40784fefea391e22, 1

	.ident	"AMD clang version 22.0.0git (https://github.com/RadeonOpenCompute/llvm-project roc-7.2.4 26084 f58b06dce1f9c15707c5f808fd002e18c2accf7e)"
	.section	".note.GNU-stack","",@progbits
	.addrsig
	.addrsig_sym __hip_cuid_40784fefea391e22
	.amdgpu_metadata
---
amdhsa.kernels:
  - .args:
      - .offset:         0
        .size:           4
        .value_kind:     by_value
      - .address_space:  global
        .offset:         8
        .size:           8
        .value_kind:     global_buffer
      - .offset:         16
        .size:           4
        .value_kind:     by_value
      - .address_space:  global
        .offset:         24
        .size:           8
        .value_kind:     global_buffer
      - .offset:         32
        .size:           4
        .value_kind:     hidden_block_count_x
      - .offset:         36
        .size:           4
        .value_kind:     hidden_block_count_y
      - .offset:         40
        .size:           4
        .value_kind:     hidden_block_count_z
      - .offset:         44
        .size:           2
        .value_kind:     hidden_group_size_x
      - .offset:         46
        .size:           2
        .value_kind:     hidden_group_size_y
      - .offset:         48
        .size:           2
        .value_kind:     hidden_group_size_z
      - .offset:         50
        .size:           2
        .value_kind:     hidden_remainder_x
      - .offset:         52
        .size:           2
        .value_kind:     hidden_remainder_y
      - .offset:         54
        .size:           2
        .value_kind:     hidden_remainder_z
      - .offset:         72
        .size:           8
        .value_kind:     hidden_global_offset_x
      - .offset:         80
        .size:           8
        .value_kind:     hidden_global_offset_y
      - .offset:         88
        .size:           8
        .value_kind:     hidden_global_offset_z
      - .offset:         96
        .size:           2
        .value_kind:     hidden_grid_dims
      - .offset:         112
        .size:           8
        .value_kind:     hidden_hostcall_buffer
    .group_segment_fixed_size: 0
    .kernarg_segment_align: 8
    .kernarg_segment_size: 288
    .language:       OpenCL C
    .language_version:
      - 2
      - 0
    .max_flat_workgroup_size: 1024
    .name:           _Z8kernel_aiPViiPi
    .private_segment_fixed_size: 0
    .sgpr_count:     30
    .sgpr_spill_count: 0
    .symbol:         _Z8kernel_aiPViiPi.kd
    .uniform_work_group_size: 1
    .uses_dynamic_stack: false
    .vgpr_count:     35
    .vgpr_spill_count: 0
    .wavefront_size: 64
amdhsa.target:   amdgcn-amd-amdhsa--gfx906
amdhsa.version:
  - 1
  - 2
...

	.end_amdgpu_metadata
